;; amdgpu-corpus repo=ROCm/rocFFT kind=compiled arch=gfx1201 opt=O3
	.text
	.amdgcn_target "amdgcn-amd-amdhsa--gfx1201"
	.amdhsa_code_object_version 6
	.protected	fft_rtc_fwd_len1716_factors_13_2_6_11_wgs_156_tpt_156_dp_ip_CI_unitstride_sbrr_R2C_dirReg ; -- Begin function fft_rtc_fwd_len1716_factors_13_2_6_11_wgs_156_tpt_156_dp_ip_CI_unitstride_sbrr_R2C_dirReg
	.globl	fft_rtc_fwd_len1716_factors_13_2_6_11_wgs_156_tpt_156_dp_ip_CI_unitstride_sbrr_R2C_dirReg
	.p2align	8
	.type	fft_rtc_fwd_len1716_factors_13_2_6_11_wgs_156_tpt_156_dp_ip_CI_unitstride_sbrr_R2C_dirReg,@function
fft_rtc_fwd_len1716_factors_13_2_6_11_wgs_156_tpt_156_dp_ip_CI_unitstride_sbrr_R2C_dirReg: ; @fft_rtc_fwd_len1716_factors_13_2_6_11_wgs_156_tpt_156_dp_ip_CI_unitstride_sbrr_R2C_dirReg
; %bb.0:
	s_clause 0x2
	s_load_b128 s[4:7], s[0:1], 0x0
	s_load_b64 s[8:9], s[0:1], 0x50
	s_load_b64 s[10:11], s[0:1], 0x18
	v_mul_u32_u24_e32 v1, 0x1a5, v0
	v_mov_b32_e32 v3, 0
	s_delay_alu instid0(VALU_DEP_2) | instskip(NEXT) | instid1(VALU_DEP_1)
	v_lshrrev_b32_e32 v1, 16, v1
	v_add_nc_u32_e32 v5, ttmp9, v1
	v_mov_b32_e32 v1, 0
	v_mov_b32_e32 v2, 0
	;; [unrolled: 1-line block ×3, first 2 shown]
	s_wait_kmcnt 0x0
	v_cmp_lt_u64_e64 s2, s[6:7], 2
	s_delay_alu instid0(VALU_DEP_1)
	s_and_b32 vcc_lo, exec_lo, s2
	s_cbranch_vccnz .LBB0_8
; %bb.1:
	s_load_b64 s[2:3], s[0:1], 0x10
	v_mov_b32_e32 v1, 0
	v_mov_b32_e32 v2, 0
	s_add_nc_u64 s[12:13], s[10:11], 8
	s_mov_b64 s[14:15], 1
	s_wait_kmcnt 0x0
	s_add_nc_u64 s[16:17], s[2:3], 8
	s_mov_b32 s3, 0
.LBB0_2:                                ; =>This Inner Loop Header: Depth=1
	s_load_b64 s[18:19], s[16:17], 0x0
                                        ; implicit-def: $vgpr7_vgpr8
	s_mov_b32 s2, exec_lo
	s_wait_kmcnt 0x0
	v_or_b32_e32 v4, s19, v6
	s_delay_alu instid0(VALU_DEP_1)
	v_cmpx_ne_u64_e32 0, v[3:4]
	s_wait_alu 0xfffe
	s_xor_b32 s20, exec_lo, s2
	s_cbranch_execz .LBB0_4
; %bb.3:                                ;   in Loop: Header=BB0_2 Depth=1
	s_cvt_f32_u32 s2, s18
	s_cvt_f32_u32 s21, s19
	s_sub_nc_u64 s[24:25], 0, s[18:19]
	s_wait_alu 0xfffe
	s_delay_alu instid0(SALU_CYCLE_1) | instskip(SKIP_1) | instid1(SALU_CYCLE_2)
	s_fmamk_f32 s2, s21, 0x4f800000, s2
	s_wait_alu 0xfffe
	v_s_rcp_f32 s2, s2
	s_delay_alu instid0(TRANS32_DEP_1) | instskip(SKIP_1) | instid1(SALU_CYCLE_2)
	s_mul_f32 s2, s2, 0x5f7ffffc
	s_wait_alu 0xfffe
	s_mul_f32 s21, s2, 0x2f800000
	s_wait_alu 0xfffe
	s_delay_alu instid0(SALU_CYCLE_2) | instskip(SKIP_1) | instid1(SALU_CYCLE_2)
	s_trunc_f32 s21, s21
	s_wait_alu 0xfffe
	s_fmamk_f32 s2, s21, 0xcf800000, s2
	s_cvt_u32_f32 s23, s21
	s_wait_alu 0xfffe
	s_delay_alu instid0(SALU_CYCLE_1) | instskip(SKIP_1) | instid1(SALU_CYCLE_2)
	s_cvt_u32_f32 s22, s2
	s_wait_alu 0xfffe
	s_mul_u64 s[26:27], s[24:25], s[22:23]
	s_wait_alu 0xfffe
	s_mul_hi_u32 s29, s22, s27
	s_mul_i32 s28, s22, s27
	s_mul_hi_u32 s2, s22, s26
	s_mul_i32 s30, s23, s26
	s_wait_alu 0xfffe
	s_add_nc_u64 s[28:29], s[2:3], s[28:29]
	s_mul_hi_u32 s21, s23, s26
	s_mul_hi_u32 s31, s23, s27
	s_add_co_u32 s2, s28, s30
	s_wait_alu 0xfffe
	s_add_co_ci_u32 s2, s29, s21
	s_mul_i32 s26, s23, s27
	s_add_co_ci_u32 s27, s31, 0
	s_wait_alu 0xfffe
	s_add_nc_u64 s[26:27], s[2:3], s[26:27]
	s_wait_alu 0xfffe
	v_add_co_u32 v4, s2, s22, s26
	s_delay_alu instid0(VALU_DEP_1) | instskip(SKIP_1) | instid1(VALU_DEP_1)
	s_cmp_lg_u32 s2, 0
	s_add_co_ci_u32 s23, s23, s27
	v_readfirstlane_b32 s22, v4
	s_wait_alu 0xfffe
	s_delay_alu instid0(VALU_DEP_1)
	s_mul_u64 s[24:25], s[24:25], s[22:23]
	s_wait_alu 0xfffe
	s_mul_hi_u32 s27, s22, s25
	s_mul_i32 s26, s22, s25
	s_mul_hi_u32 s2, s22, s24
	s_mul_i32 s28, s23, s24
	s_wait_alu 0xfffe
	s_add_nc_u64 s[26:27], s[2:3], s[26:27]
	s_mul_hi_u32 s21, s23, s24
	s_mul_hi_u32 s22, s23, s25
	s_wait_alu 0xfffe
	s_add_co_u32 s2, s26, s28
	s_add_co_ci_u32 s2, s27, s21
	s_mul_i32 s24, s23, s25
	s_add_co_ci_u32 s25, s22, 0
	s_wait_alu 0xfffe
	s_add_nc_u64 s[24:25], s[2:3], s[24:25]
	s_wait_alu 0xfffe
	v_add_co_u32 v4, s2, v4, s24
	s_delay_alu instid0(VALU_DEP_1) | instskip(SKIP_1) | instid1(VALU_DEP_1)
	s_cmp_lg_u32 s2, 0
	s_add_co_ci_u32 s2, s23, s25
	v_mul_hi_u32 v13, v5, v4
	s_wait_alu 0xfffe
	v_mad_co_u64_u32 v[7:8], null, v5, s2, 0
	v_mad_co_u64_u32 v[9:10], null, v6, v4, 0
	;; [unrolled: 1-line block ×3, first 2 shown]
	s_delay_alu instid0(VALU_DEP_3) | instskip(SKIP_1) | instid1(VALU_DEP_4)
	v_add_co_u32 v4, vcc_lo, v13, v7
	s_wait_alu 0xfffd
	v_add_co_ci_u32_e32 v7, vcc_lo, 0, v8, vcc_lo
	s_delay_alu instid0(VALU_DEP_2) | instskip(SKIP_1) | instid1(VALU_DEP_2)
	v_add_co_u32 v4, vcc_lo, v4, v9
	s_wait_alu 0xfffd
	v_add_co_ci_u32_e32 v4, vcc_lo, v7, v10, vcc_lo
	s_wait_alu 0xfffd
	v_add_co_ci_u32_e32 v7, vcc_lo, 0, v12, vcc_lo
	s_delay_alu instid0(VALU_DEP_2) | instskip(SKIP_1) | instid1(VALU_DEP_2)
	v_add_co_u32 v4, vcc_lo, v4, v11
	s_wait_alu 0xfffd
	v_add_co_ci_u32_e32 v9, vcc_lo, 0, v7, vcc_lo
	s_delay_alu instid0(VALU_DEP_2) | instskip(SKIP_1) | instid1(VALU_DEP_3)
	v_mul_lo_u32 v10, s19, v4
	v_mad_co_u64_u32 v[7:8], null, s18, v4, 0
	v_mul_lo_u32 v11, s18, v9
	s_delay_alu instid0(VALU_DEP_2) | instskip(NEXT) | instid1(VALU_DEP_2)
	v_sub_co_u32 v7, vcc_lo, v5, v7
	v_add3_u32 v8, v8, v11, v10
	s_delay_alu instid0(VALU_DEP_1) | instskip(SKIP_1) | instid1(VALU_DEP_1)
	v_sub_nc_u32_e32 v10, v6, v8
	s_wait_alu 0xfffd
	v_subrev_co_ci_u32_e64 v10, s2, s19, v10, vcc_lo
	v_add_co_u32 v11, s2, v4, 2
	s_wait_alu 0xf1ff
	v_add_co_ci_u32_e64 v12, s2, 0, v9, s2
	v_sub_co_u32 v13, s2, v7, s18
	v_sub_co_ci_u32_e32 v8, vcc_lo, v6, v8, vcc_lo
	s_wait_alu 0xf1ff
	v_subrev_co_ci_u32_e64 v10, s2, 0, v10, s2
	s_delay_alu instid0(VALU_DEP_3) | instskip(NEXT) | instid1(VALU_DEP_3)
	v_cmp_le_u32_e32 vcc_lo, s18, v13
	v_cmp_eq_u32_e64 s2, s19, v8
	s_wait_alu 0xfffd
	v_cndmask_b32_e64 v13, 0, -1, vcc_lo
	v_cmp_le_u32_e32 vcc_lo, s19, v10
	s_wait_alu 0xfffd
	v_cndmask_b32_e64 v14, 0, -1, vcc_lo
	v_cmp_le_u32_e32 vcc_lo, s18, v7
	;; [unrolled: 3-line block ×3, first 2 shown]
	s_wait_alu 0xfffd
	v_cndmask_b32_e64 v15, 0, -1, vcc_lo
	v_cmp_eq_u32_e32 vcc_lo, s19, v10
	s_wait_alu 0xf1ff
	s_delay_alu instid0(VALU_DEP_2)
	v_cndmask_b32_e64 v7, v15, v7, s2
	s_wait_alu 0xfffd
	v_cndmask_b32_e32 v10, v14, v13, vcc_lo
	v_add_co_u32 v13, vcc_lo, v4, 1
	s_wait_alu 0xfffd
	v_add_co_ci_u32_e32 v14, vcc_lo, 0, v9, vcc_lo
	s_delay_alu instid0(VALU_DEP_3) | instskip(SKIP_2) | instid1(VALU_DEP_3)
	v_cmp_ne_u32_e32 vcc_lo, 0, v10
	s_wait_alu 0xfffd
	v_cndmask_b32_e32 v10, v13, v11, vcc_lo
	v_cndmask_b32_e32 v8, v14, v12, vcc_lo
	v_cmp_ne_u32_e32 vcc_lo, 0, v7
	s_wait_alu 0xfffd
	s_delay_alu instid0(VALU_DEP_2)
	v_dual_cndmask_b32 v7, v4, v10 :: v_dual_cndmask_b32 v8, v9, v8
.LBB0_4:                                ;   in Loop: Header=BB0_2 Depth=1
	s_wait_alu 0xfffe
	s_and_not1_saveexec_b32 s2, s20
	s_cbranch_execz .LBB0_6
; %bb.5:                                ;   in Loop: Header=BB0_2 Depth=1
	v_cvt_f32_u32_e32 v4, s18
	s_sub_co_i32 s20, 0, s18
	s_delay_alu instid0(VALU_DEP_1) | instskip(NEXT) | instid1(TRANS32_DEP_1)
	v_rcp_iflag_f32_e32 v4, v4
	v_mul_f32_e32 v4, 0x4f7ffffe, v4
	s_delay_alu instid0(VALU_DEP_1) | instskip(SKIP_1) | instid1(VALU_DEP_1)
	v_cvt_u32_f32_e32 v4, v4
	s_wait_alu 0xfffe
	v_mul_lo_u32 v7, s20, v4
	s_delay_alu instid0(VALU_DEP_1) | instskip(NEXT) | instid1(VALU_DEP_1)
	v_mul_hi_u32 v7, v4, v7
	v_add_nc_u32_e32 v4, v4, v7
	s_delay_alu instid0(VALU_DEP_1) | instskip(NEXT) | instid1(VALU_DEP_1)
	v_mul_hi_u32 v4, v5, v4
	v_mul_lo_u32 v7, v4, s18
	v_add_nc_u32_e32 v8, 1, v4
	s_delay_alu instid0(VALU_DEP_2) | instskip(NEXT) | instid1(VALU_DEP_1)
	v_sub_nc_u32_e32 v7, v5, v7
	v_subrev_nc_u32_e32 v9, s18, v7
	v_cmp_le_u32_e32 vcc_lo, s18, v7
	s_wait_alu 0xfffd
	s_delay_alu instid0(VALU_DEP_2) | instskip(NEXT) | instid1(VALU_DEP_1)
	v_dual_cndmask_b32 v7, v7, v9 :: v_dual_cndmask_b32 v4, v4, v8
	v_cmp_le_u32_e32 vcc_lo, s18, v7
	s_delay_alu instid0(VALU_DEP_2) | instskip(SKIP_1) | instid1(VALU_DEP_1)
	v_add_nc_u32_e32 v8, 1, v4
	s_wait_alu 0xfffd
	v_dual_cndmask_b32 v7, v4, v8 :: v_dual_mov_b32 v8, v3
.LBB0_6:                                ;   in Loop: Header=BB0_2 Depth=1
	s_wait_alu 0xfffe
	s_or_b32 exec_lo, exec_lo, s2
	s_load_b64 s[20:21], s[12:13], 0x0
	s_delay_alu instid0(VALU_DEP_1)
	v_mul_lo_u32 v4, v8, s18
	v_mul_lo_u32 v11, v7, s19
	v_mad_co_u64_u32 v[9:10], null, v7, s18, 0
	s_add_nc_u64 s[14:15], s[14:15], 1
	s_add_nc_u64 s[12:13], s[12:13], 8
	s_wait_alu 0xfffe
	v_cmp_ge_u64_e64 s2, s[14:15], s[6:7]
	s_add_nc_u64 s[16:17], s[16:17], 8
	s_delay_alu instid0(VALU_DEP_2) | instskip(NEXT) | instid1(VALU_DEP_3)
	v_add3_u32 v4, v10, v11, v4
	v_sub_co_u32 v5, vcc_lo, v5, v9
	s_wait_alu 0xfffd
	s_delay_alu instid0(VALU_DEP_2) | instskip(SKIP_3) | instid1(VALU_DEP_2)
	v_sub_co_ci_u32_e32 v4, vcc_lo, v6, v4, vcc_lo
	s_and_b32 vcc_lo, exec_lo, s2
	s_wait_kmcnt 0x0
	v_mul_lo_u32 v6, s21, v5
	v_mul_lo_u32 v4, s20, v4
	v_mad_co_u64_u32 v[1:2], null, s20, v5, v[1:2]
	s_delay_alu instid0(VALU_DEP_1)
	v_add3_u32 v2, v6, v2, v4
	s_wait_alu 0xfffe
	s_cbranch_vccnz .LBB0_9
; %bb.7:                                ;   in Loop: Header=BB0_2 Depth=1
	v_dual_mov_b32 v5, v7 :: v_dual_mov_b32 v6, v8
	s_branch .LBB0_2
.LBB0_8:
	v_dual_mov_b32 v8, v6 :: v_dual_mov_b32 v7, v5
.LBB0_9:
	s_lshl_b64 s[2:3], s[6:7], 3
	v_mul_hi_u32 v3, 0x1a41a42, v0
	s_wait_alu 0xfffe
	s_add_nc_u64 s[2:3], s[10:11], s[2:3]
	s_load_b64 s[2:3], s[2:3], 0x0
	s_load_b64 s[0:1], s[0:1], 0x20
	s_delay_alu instid0(VALU_DEP_1) | instskip(NEXT) | instid1(VALU_DEP_1)
	v_mul_u32_u24_e32 v3, 0x9c, v3
	v_sub_nc_u32_e32 v60, v0, v3
	s_delay_alu instid0(VALU_DEP_1)
	v_lshl_add_u32 v160, v60, 4, 0
	s_wait_kmcnt 0x0
	v_mul_lo_u32 v4, s2, v8
	v_mul_lo_u32 v5, s3, v7
	v_mad_co_u64_u32 v[1:2], null, s2, v7, v[1:2]
	v_cmp_gt_u64_e32 vcc_lo, s[0:1], v[7:8]
	s_delay_alu instid0(VALU_DEP_2) | instskip(NEXT) | instid1(VALU_DEP_1)
	v_add3_u32 v2, v5, v2, v4
	v_lshlrev_b64_e32 v[62:63], 4, v[1:2]
	s_and_saveexec_b32 s1, vcc_lo
	s_cbranch_execz .LBB0_11
; %bb.10:
	v_mov_b32_e32 v61, 0
	s_delay_alu instid0(VALU_DEP_2) | instskip(SKIP_2) | instid1(VALU_DEP_3)
	v_add_co_u32 v2, s0, s8, v62
	s_wait_alu 0xf1ff
	v_add_co_ci_u32_e64 v3, s0, s9, v63, s0
	v_lshlrev_b64_e32 v[0:1], 4, v[60:61]
	s_delay_alu instid0(VALU_DEP_1) | instskip(SKIP_1) | instid1(VALU_DEP_2)
	v_add_co_u32 v40, s0, v2, v0
	s_wait_alu 0xf1ff
	v_add_co_ci_u32_e64 v41, s0, v3, v1, s0
	s_clause 0xa
	global_load_b128 v[0:3], v[40:41], off
	global_load_b128 v[4:7], v[40:41], off offset:2496
	global_load_b128 v[8:11], v[40:41], off offset:4992
	;; [unrolled: 1-line block ×10, first 2 shown]
	s_wait_loadcnt 0xa
	ds_store_b128 v160, v[0:3]
	s_wait_loadcnt 0x9
	ds_store_b128 v160, v[4:7] offset:2496
	s_wait_loadcnt 0x8
	ds_store_b128 v160, v[8:11] offset:4992
	s_wait_loadcnt 0x7
	ds_store_b128 v160, v[12:15] offset:7488
	s_wait_loadcnt 0x6
	ds_store_b128 v160, v[16:19] offset:9984
	s_wait_loadcnt 0x5
	ds_store_b128 v160, v[20:23] offset:12480
	s_wait_loadcnt 0x4
	ds_store_b128 v160, v[24:27] offset:14976
	s_wait_loadcnt 0x3
	ds_store_b128 v160, v[28:31] offset:17472
	s_wait_loadcnt 0x2
	ds_store_b128 v160, v[32:35] offset:19968
	s_wait_loadcnt 0x1
	ds_store_b128 v160, v[36:39] offset:22464
	s_wait_loadcnt 0x0
	ds_store_b128 v160, v[40:43] offset:24960
.LBB0_11:
	s_wait_alu 0xfffe
	s_or_b32 exec_lo, exec_lo, s1
	global_wb scope:SCOPE_SE
	s_wait_dscnt 0x0
	s_barrier_signal -1
	s_barrier_wait -1
	global_inv scope:SCOPE_SE
	ds_load_b128 v[8:11], v160 offset:25344
	ds_load_b128 v[36:39], v160 offset:2112
	ds_load_b128 v[24:27], v160
	ds_load_b128 v[12:15], v160 offset:23232
	ds_load_b128 v[48:51], v160 offset:4224
	ds_load_b128 v[44:47], v160 offset:6336
	s_mov_b32 s2, 0x42a4c3d2
	s_mov_b32 s6, 0x66966769
	s_mov_b32 s3, 0xbfea55e2
	s_mov_b32 s7, 0xbfefc445
	ds_load_b128 v[16:19], v160 offset:21120
	s_mov_b32 s10, 0x1ea71119
	s_mov_b32 s14, 0x2ef20147
	;; [unrolled: 1-line block ×8, first 2 shown]
	ds_load_b128 v[20:23], v160 offset:19008
	ds_load_b128 v[56:59], v160 offset:8448
	s_mov_b32 s18, 0xb2365da1
	s_mov_b32 s16, 0x93053d00
	;; [unrolled: 1-line block ×3, first 2 shown]
	s_wait_dscnt 0x7
	v_add_f64_e64 v[102:103], v[38:39], -v[10:11]
	v_add_f64_e64 v[104:105], v[36:37], -v[8:9]
	s_wait_dscnt 0x4
	v_add_f64_e64 v[88:89], v[50:51], -v[14:15]
	v_add_f64_e64 v[90:91], v[48:49], -v[12:13]
	v_add_f64_e32 v[96:97], v[36:37], v[8:9]
	v_add_f64_e32 v[156:157], v[38:39], v[10:11]
	;; [unrolled: 1-line block ×3, first 2 shown]
	s_wait_dscnt 0x2
	v_add_f64_e64 v[132:133], v[46:47], -v[18:19]
	v_add_f64_e64 v[106:107], v[44:45], -v[16:17]
	v_add_f64_e32 v[142:143], v[50:51], v[14:15]
	s_mov_b32 s17, 0xbfef11f4
	s_mov_b32 s21, 0x3fedeba7
	s_wait_alu 0xfffe
	s_mov_b32 s20, s14
	v_add_f64_e32 v[98:99], v[44:45], v[16:17]
	v_add_f64_e32 v[152:153], v[46:47], v[18:19]
	ds_load_b128 v[52:55], v160 offset:10560
	ds_load_b128 v[28:31], v160 offset:16896
	s_wait_dscnt 0x2
	v_add_f64_e64 v[94:95], v[58:59], -v[22:23]
	v_add_f64_e64 v[114:115], v[56:57], -v[20:21]
	s_mov_b32 s24, 0x24c2f84
	s_mov_b32 s34, 0x4267c47c
	s_mov_b32 s25, 0x3fe5384d
	s_mov_b32 s35, 0x3fddbe06
	v_add_f64_e32 v[82:83], v[56:57], v[20:21]
	v_add_f64_e32 v[158:159], v[58:59], v[22:23]
	s_mov_b32 s28, 0xd0032e0c
	s_mov_b32 s30, 0xe00740e9
	;; [unrolled: 1-line block ×7, first 2 shown]
	s_wait_alu 0xfffe
	s_mov_b32 s36, s24
	s_mov_b32 s33, exec_lo
	s_wait_dscnt 0x0
	v_add_f64_e64 v[80:81], v[54:55], -v[30:31]
	v_add_f64_e64 v[68:69], v[52:53], -v[28:29]
	v_mul_f64_e32 v[116:117], s[2:3], v[102:103]
	v_mul_f64_e32 v[120:121], s[2:3], v[104:105]
	;; [unrolled: 1-line block ×12, first 2 shown]
	v_add_f64_e32 v[76:77], v[52:53], v[28:29]
	v_add_f64_e32 v[100:101], v[54:55], v[30:31]
	v_mul_f64_e32 v[126:127], s[24:25], v[94:95]
	v_mul_f64_e32 v[128:129], s[24:25], v[114:115]
	;; [unrolled: 1-line block ×6, first 2 shown]
	v_fma_f64 v[0:1], v[96:97], s[10:11], v[116:117]
	v_fma_f64 v[2:3], v[156:157], s[10:11], -v[120:121]
	v_fma_f64 v[4:5], v[96:97], s[22:23], v[140:141]
	v_fma_f64 v[6:7], v[156:157], s[22:23], -v[144:145]
	;; [unrolled: 2-line block ×6, first 2 shown]
	v_mul_f64_e32 v[150:151], s[2:3], v[80:81]
	v_mul_f64_e32 v[154:155], s[2:3], v[68:69]
	v_fma_f64 v[161:162], v[82:83], s[28:29], v[126:127]
	v_fma_f64 v[163:164], v[158:159], s[28:29], -v[128:129]
	v_fma_f64 v[165:166], v[82:83], s[30:31], v[130:131]
	v_fma_f64 v[167:168], v[158:159], s[30:31], -v[148:149]
	;; [unrolled: 2-line block ×3, first 2 shown]
	v_add_f64_e32 v[0:1], v[24:25], v[0:1]
	v_add_f64_e32 v[2:3], v[26:27], v[2:3]
	;; [unrolled: 1-line block ×4, first 2 shown]
	v_fma_f64 v[173:174], v[76:77], s[10:11], v[150:151]
	v_fma_f64 v[175:176], v[100:101], s[10:11], -v[154:155]
	v_add_f64_e32 v[0:1], v[32:33], v[0:1]
	v_add_f64_e32 v[2:3], v[34:35], v[2:3]
	;; [unrolled: 1-line block ×4, first 2 shown]
	ds_load_b128 v[40:43], v160 offset:12672
	ds_load_b128 v[32:35], v160 offset:14784
	global_wb scope:SCOPE_SE
	s_wait_dscnt 0x0
	s_barrier_signal -1
	s_barrier_wait -1
	global_inv scope:SCOPE_SE
	v_add_f64_e64 v[84:85], v[42:43], -v[34:35]
	v_add_f64_e64 v[64:65], v[40:41], -v[32:33]
	v_add_f64_e32 v[86:87], v[42:43], v[34:35]
	v_add_f64_e32 v[0:1], v[66:67], v[0:1]
	;; [unrolled: 1-line block ×6, first 2 shown]
	v_mul_f64_e32 v[70:71], s[34:35], v[84:85]
	v_mul_f64_e32 v[72:73], s[34:35], v[64:65]
	;; [unrolled: 1-line block ×4, first 2 shown]
	v_add_f64_e32 v[0:1], v[161:162], v[0:1]
	v_add_f64_e32 v[2:3], v[163:164], v[2:3]
	;; [unrolled: 1-line block ×4, first 2 shown]
	v_fma_f64 v[161:162], v[66:67], s[30:31], v[70:71]
	v_fma_f64 v[163:164], v[86:87], s[30:31], -v[72:73]
	v_fma_f64 v[165:166], v[66:67], s[28:29], v[74:75]
	v_fma_f64 v[167:168], v[86:87], s[28:29], -v[78:79]
	v_add_f64_e32 v[0:1], v[169:170], v[0:1]
	v_add_f64_e32 v[2:3], v[171:172], v[2:3]
	;; [unrolled: 1-line block ×4, first 2 shown]
	s_delay_alu instid0(VALU_DEP_4) | instskip(NEXT) | instid1(VALU_DEP_4)
	v_add_f64_e32 v[4:5], v[161:162], v[0:1]
	v_add_f64_e32 v[6:7], v[163:164], v[2:3]
	s_delay_alu instid0(VALU_DEP_4) | instskip(NEXT) | instid1(VALU_DEP_4)
	v_add_f64_e32 v[0:1], v[165:166], v[169:170]
	v_add_f64_e32 v[2:3], v[167:168], v[171:172]
	v_cmpx_gt_u32_e32 0x84, v60
	s_cbranch_execz .LBB0_13
; %bb.12:
	v_add_f64_e32 v[38:39], v[26:27], v[38:39]
	v_add_f64_e32 v[36:37], v[24:25], v[36:37]
	v_mul_f64_e32 v[161:162], s[22:23], v[156:157]
	v_mul_f64_e32 v[165:166], s[10:11], v[96:97]
	;; [unrolled: 1-line block ×3, first 2 shown]
	s_mov_b32 s39, 0xbfddbe06
	s_mov_b32 s38, s34
	v_mul_f64_e32 v[163:164], s[14:15], v[102:103]
	s_mov_b32 s1, 0x3fcea1e5
	s_mov_b32 s0, s12
	v_mul_f64_e32 v[169:170], s[10:11], v[100:101]
	v_mul_f64_e32 v[171:172], s[30:31], v[158:159]
	;; [unrolled: 1-line block ×24, first 2 shown]
	s_mov_b32 s41, 0x3fea55e2
	s_mov_b32 s40, s2
	v_add_f64_e32 v[38:39], v[38:39], v[50:51]
	v_add_f64_e32 v[36:37], v[36:37], v[48:49]
	v_mul_f64_e32 v[48:49], s[28:29], v[156:157]
	v_mul_f64_e32 v[50:51], s[36:37], v[102:103]
	v_add_f64_e32 v[144:145], v[144:145], v[161:162]
	v_add_f64_e32 v[120:121], v[120:121], v[167:168]
	v_add_f64_e64 v[116:117], v[165:166], -v[116:117]
	v_add_f64_e32 v[154:155], v[154:155], v[169:170]
	v_mul_f64_e32 v[169:170], s[36:37], v[132:133]
	v_add_f64_e32 v[148:149], v[148:149], v[171:172]
	v_mul_f64_e32 v[171:172], s[2:3], v[132:133]
	;; [unrolled: 2-line block ×3, first 2 shown]
	v_mul_f64_e32 v[132:133], s[6:7], v[132:133]
	v_add_f64_e32 v[138:139], v[138:139], v[175:176]
	v_mul_f64_e32 v[175:176], s[34:35], v[88:89]
	v_add_f64_e64 v[150:151], v[177:178], -v[150:151]
	v_mul_f64_e32 v[177:178], s[26:27], v[88:89]
	v_add_f64_e64 v[130:131], v[179:180], -v[130:131]
	v_add_f64_e64 v[124:125], v[181:182], -v[124:125]
	;; [unrolled: 1-line block ×3, first 2 shown]
	v_fma_f64 v[183:184], v[96:97], s[18:19], v[163:164]
	v_fma_f64 v[163:164], v[96:97], s[18:19], -v[163:164]
	v_add_f64_e32 v[136:137], v[136:137], v[185:186]
	v_add_f64_e32 v[128:129], v[128:129], v[187:188]
	v_fma_f64 v[185:186], v[114:115], s[2:3], v[201:202]
	v_fma_f64 v[187:188], v[114:115], s[40:41], v[201:202]
	v_add_f64_e32 v[122:123], v[122:123], v[189:190]
	v_add_f64_e32 v[110:111], v[110:111], v[191:192]
	v_add_f64_e64 v[134:135], v[195:196], -v[134:135]
	v_add_f64_e64 v[126:127], v[193:194], -v[126:127]
	;; [unrolled: 1-line block ×4, first 2 shown]
	v_fma_f64 v[189:190], v[114:115], s[12:13], v[203:204]
	s_wait_alu 0xfffe
	v_fma_f64 v[191:192], v[114:115], s[0:1], v[203:204]
	v_add_f64_e32 v[38:39], v[38:39], v[46:47]
	v_add_f64_e32 v[36:37], v[36:37], v[44:45]
	v_mul_f64_e32 v[44:45], s[16:17], v[156:157]
	v_mul_f64_e32 v[46:47], s[12:13], v[102:103]
	;; [unrolled: 1-line block ×3, first 2 shown]
	v_fma_f64 v[181:182], v[96:97], s[28:29], v[50:51]
	v_fma_f64 v[50:51], v[96:97], s[28:29], -v[50:51]
	v_fma_f64 v[193:194], v[114:115], s[26:27], v[205:206]
	v_fma_f64 v[195:196], v[114:115], s[6:7], v[205:206]
	;; [unrolled: 1-line block ×9, first 2 shown]
	v_add_f64_e32 v[144:145], v[26:27], v[144:145]
	v_add_f64_e32 v[120:121], v[26:27], v[120:121]
	;; [unrolled: 1-line block ×3, first 2 shown]
	v_fma_f64 v[213:214], v[92:93], s[22:23], v[177:178]
	v_fma_f64 v[177:178], v[92:93], s[22:23], -v[177:178]
	v_add_f64_e32 v[183:184], v[24:25], v[183:184]
	v_add_f64_e32 v[163:164], v[24:25], v[163:164]
	;; [unrolled: 1-line block ×4, first 2 shown]
	v_mul_f64_e32 v[56:57], s[18:19], v[156:157]
	v_mul_f64_e32 v[58:59], s[22:23], v[96:97]
	;; [unrolled: 1-line block ×3, first 2 shown]
	v_fma_f64 v[161:162], v[104:105], s[0:1], v[44:45]
	v_fma_f64 v[44:45], v[104:105], s[12:13], v[44:45]
	;; [unrolled: 1-line block ×3, first 2 shown]
	v_fma_f64 v[46:47], v[96:97], s[16:17], -v[46:47]
	v_fma_f64 v[201:202], v[96:97], s[30:31], v[102:103]
	v_fma_f64 v[96:97], v[96:97], s[30:31], -v[102:103]
	v_fma_f64 v[102:103], v[106:107], s[40:41], v[209:210]
	v_add_f64_e32 v[181:182], v[24:25], v[181:182]
	v_add_f64_e32 v[50:51], v[24:25], v[50:51]
	;; [unrolled: 1-line block ×5, first 2 shown]
	v_mul_f64_e32 v[144:145], s[34:35], v[80:81]
	v_mul_f64_e32 v[120:121], s[18:19], v[86:87]
	;; [unrolled: 1-line block ×3, first 2 shown]
	v_add_f64_e32 v[38:39], v[38:39], v[54:55]
	v_add_f64_e32 v[36:37], v[36:37], v[52:53]
	v_mul_f64_e32 v[52:53], s[30:31], v[142:143]
	v_mul_f64_e32 v[54:55], s[22:23], v[142:143]
	v_add_f64_e64 v[58:59], v[58:59], -v[140:141]
	v_fma_f64 v[140:141], v[104:105], s[24:25], v[48:49]
	v_fma_f64 v[48:49], v[104:105], s[36:37], v[48:49]
	;; [unrolled: 1-line block ×6, first 2 shown]
	v_mul_f64_e32 v[156:157], s[28:29], v[142:143]
	v_mul_f64_e32 v[142:143], s[10:11], v[142:143]
	v_add_f64_e32 v[161:162], v[26:27], v[161:162]
	v_add_f64_e32 v[179:180], v[24:25], v[179:180]
	;; [unrolled: 1-line block ×5, first 2 shown]
	v_mul_f64_e32 v[177:178], s[16:17], v[100:101]
	v_add_f64_e32 v[138:139], v[146:147], v[138:139]
	v_add_f64_e32 v[110:111], v[122:123], v[110:111]
	v_add_f64_e32 v[108:109], v[118:119], v[108:109]
	v_fma_f64 v[122:123], v[76:77], s[30:31], v[144:145]
	v_add_f64_e32 v[38:39], v[38:39], v[42:43]
	v_add_f64_e32 v[36:37], v[36:37], v[40:41]
	v_fma_f64 v[40:41], v[106:107], s[26:27], v[152:153]
	v_fma_f64 v[42:43], v[106:107], s[6:7], v[152:153]
	;; [unrolled: 1-line block ×6, first 2 shown]
	v_add_f64_e32 v[140:141], v[26:27], v[140:141]
	v_add_f64_e32 v[48:49], v[26:27], v[48:49]
	;; [unrolled: 1-line block ×3, first 2 shown]
	v_fma_f64 v[209:210], v[90:91], s[36:37], v[156:157]
	v_fma_f64 v[156:157], v[90:91], s[24:25], v[156:157]
	;; [unrolled: 1-line block ×4, first 2 shown]
	v_mul_f64_e32 v[142:143], s[24:25], v[88:89]
	v_mul_f64_e32 v[88:89], s[2:3], v[88:89]
	v_add_f64_e32 v[56:57], v[26:27], v[56:57]
	v_add_f64_e32 v[58:59], v[24:25], v[58:59]
	;; [unrolled: 1-line block ×6, first 2 shown]
	v_fma_f64 v[96:97], v[98:99], s[28:29], v[169:170]
	v_fma_f64 v[169:170], v[98:99], s[28:29], -v[169:170]
	v_fma_f64 v[201:202], v[98:99], s[10:11], v[171:172]
	v_fma_f64 v[171:172], v[98:99], s[10:11], -v[171:172]
	v_add_f64_e32 v[110:111], v[128:129], v[110:111]
	v_add_f64_e32 v[108:109], v[126:127], v[108:109]
	;; [unrolled: 1-line block ×4, first 2 shown]
	v_fma_f64 v[36:37], v[98:99], s[30:31], v[173:174]
	v_fma_f64 v[38:39], v[98:99], s[30:31], -v[173:174]
	v_fma_f64 v[173:174], v[98:99], s[22:23], v[132:133]
	v_fma_f64 v[98:99], v[98:99], s[22:23], -v[132:133]
	;; [unrolled: 2-line block ×3, first 2 shown]
	v_add_f64_e32 v[44:45], v[52:53], v[44:45]
	v_mul_f64_e32 v[52:53], s[6:7], v[94:95]
	v_add_f64_e32 v[140:141], v[152:153], v[140:141]
	v_mul_f64_e32 v[152:153], s[40:41], v[94:95]
	v_add_f64_e32 v[48:49], v[54:55], v[48:49]
	v_add_f64_e32 v[167:168], v[209:210], v[167:168]
	v_mul_f64_e32 v[54:55], s[30:31], v[100:101]
	v_fma_f64 v[215:216], v[92:93], s[28:29], v[142:143]
	v_fma_f64 v[142:143], v[92:93], s[28:29], -v[142:143]
	v_fma_f64 v[217:218], v[92:93], s[10:11], v[88:89]
	v_fma_f64 v[88:89], v[92:93], s[10:11], -v[88:89]
	v_add_f64_e32 v[92:93], v[106:107], v[161:162]
	v_add_f64_e32 v[56:57], v[156:157], v[56:57]
	;; [unrolled: 1-line block ×6, first 2 shown]
	v_mul_f64_e32 v[156:157], s[14:15], v[80:81]
	v_add_f64_e32 v[50:51], v[171:172], v[50:51]
	v_mul_f64_e32 v[112:113], s[30:31], v[66:67]
	v_mul_f64_e32 v[209:210], s[28:29], v[66:67]
	;; [unrolled: 1-line block ×3, first 2 shown]
	v_add_f64_e32 v[30:31], v[34:35], v[30:31]
	v_add_f64_e32 v[28:29], v[32:33], v[28:29]
	;; [unrolled: 1-line block ×3, first 2 shown]
	v_mul_f64_e32 v[132:133], s[14:15], v[94:95]
	v_mul_f64_e32 v[94:95], s[0:1], v[94:95]
	v_add_f64_e32 v[46:47], v[175:176], v[46:47]
	v_mul_f64_e32 v[175:176], s[18:19], v[100:101]
	v_mul_f64_e32 v[100:101], s[28:29], v[100:101]
	v_add_f64_e32 v[48:49], v[203:204], v[48:49]
	;; [unrolled: 3-line block ×3, first 2 shown]
	v_add_f64_e32 v[142:143], v[142:143], v[163:164]
	v_add_f64_e32 v[32:33], v[217:218], v[104:105]
	;; [unrolled: 1-line block ×3, first 2 shown]
	v_fma_f64 v[88:89], v[82:83], s[22:23], v[52:53]
	v_fma_f64 v[52:53], v[82:83], s[22:23], -v[52:53]
	v_add_f64_e32 v[56:57], v[207:208], v[56:57]
	v_add_f64_e32 v[58:59], v[124:125], v[58:59]
	;; [unrolled: 1-line block ×9, first 2 shown]
	v_mul_f64_e32 v[158:159], s[30:31], v[86:87]
	v_mul_f64_e32 v[183:184], s[22:23], v[86:87]
	;; [unrolled: 1-line block ×3, first 2 shown]
	v_fma_f64 v[124:125], v[76:77], s[30:31], -v[144:145]
	v_add_f64_e64 v[70:71], v[112:113], -v[70:71]
	v_add_f64_e64 v[74:75], v[209:210], -v[74:75]
	v_add_f64_e32 v[22:23], v[30:31], v[22:23]
	v_add_f64_e32 v[20:21], v[28:29], v[20:21]
	v_fma_f64 v[30:31], v[68:69], s[12:13], v[177:178]
	v_add_f64_e32 v[96:97], v[96:97], v[106:107]
	v_fma_f64 v[34:35], v[82:83], s[18:19], v[132:133]
	v_fma_f64 v[104:105], v[82:83], s[18:19], -v[132:133]
	v_fma_f64 v[132:133], v[82:83], s[10:11], v[152:153]
	v_fma_f64 v[152:153], v[82:83], s[10:11], -v[152:153]
	;; [unrolled: 2-line block ×3, first 2 shown]
	v_add_f64_e32 v[46:47], v[169:170], v[46:47]
	v_fma_f64 v[169:170], v[68:69], s[38:39], v[54:55]
	v_add_f64_e32 v[36:37], v[36:37], v[181:182]
	v_add_f64_e32 v[38:39], v[38:39], v[142:143]
	;; [unrolled: 1-line block ×4, first 2 shown]
	v_fma_f64 v[54:55], v[68:69], s[34:35], v[54:55]
	v_fma_f64 v[32:33], v[68:69], s[0:1], v[177:178]
	v_add_f64_e32 v[48:49], v[191:192], v[48:49]
	v_add_f64_e32 v[56:57], v[195:196], v[56:57]
	v_mul_f64_e32 v[94:95], s[28:29], v[86:87]
	v_add_f64_e32 v[58:59], v[130:131], v[58:59]
	v_mul_f64_e32 v[86:87], s[16:17], v[86:87]
	v_mul_f64_e32 v[106:107], s[12:13], v[84:85]
	;; [unrolled: 1-line block ×3, first 2 shown]
	v_fma_f64 v[199:200], v[68:69], s[20:21], v[175:176]
	v_fma_f64 v[175:176], v[68:69], s[14:15], v[175:176]
	v_fma_f64 v[42:43], v[68:69], s[24:25], v[100:101]
	v_fma_f64 v[68:69], v[68:69], s[36:37], v[100:101]
	v_fma_f64 v[98:99], v[76:77], s[18:19], v[156:157]
	v_fma_f64 v[100:101], v[76:77], s[18:19], -v[156:157]
	v_fma_f64 v[142:143], v[76:77], s[28:29], v[179:180]
	v_fma_f64 v[144:145], v[76:77], s[28:29], -v[179:180]
	v_fma_f64 v[165:166], v[76:77], s[16:17], v[80:81]
	v_fma_f64 v[76:77], v[76:77], s[16:17], -v[80:81]
	v_add_f64_e32 v[80:81], v[185:186], v[92:93]
	v_add_f64_e32 v[44:45], v[187:188], v[44:45]
	;; [unrolled: 1-line block ×7, first 2 shown]
	v_fma_f64 v[146:147], v[64:65], s[6:7], v[183:184]
	v_fma_f64 v[156:157], v[66:67], s[22:23], v[163:164]
	v_add_f64_e32 v[92:93], v[132:133], v[96:97]
	v_add_f64_e32 v[96:97], v[189:190], v[102:103]
	;; [unrolled: 1-line block ×11, first 2 shown]
	v_fma_f64 v[34:35], v[64:65], s[14:15], v[120:121]
	v_add_f64_e32 v[48:49], v[54:55], v[48:49]
	v_add_f64_e32 v[32:33], v[32:33], v[56:57]
	;; [unrolled: 1-line block ×3, first 2 shown]
	v_fma_f64 v[104:105], v[64:65], s[2:3], v[90:91]
	v_fma_f64 v[90:91], v[64:65], s[40:41], v[90:91]
	v_add_f64_e32 v[78:79], v[78:79], v[94:95]
	v_add_f64_e32 v[58:59], v[150:151], v[58:59]
	v_fma_f64 v[161:162], v[64:65], s[26:27], v[183:184]
	v_fma_f64 v[163:164], v[66:67], s[22:23], -v[163:164]
	v_fma_f64 v[22:23], v[64:65], s[20:21], v[120:121]
	v_fma_f64 v[28:29], v[66:67], s[18:19], v[116:117]
	v_fma_f64 v[88:89], v[66:67], s[18:19], -v[116:117]
	v_fma_f64 v[94:95], v[64:65], s[0:1], v[86:87]
	v_fma_f64 v[112:113], v[66:67], s[16:17], v[106:107]
	;; [unrolled: 1-line block ×3, first 2 shown]
	v_fma_f64 v[86:87], v[66:67], s[16:17], -v[106:107]
	v_fma_f64 v[106:107], v[66:67], s[10:11], v[84:85]
	v_fma_f64 v[66:67], v[66:67], s[10:11], -v[84:85]
	v_add_f64_e32 v[44:45], v[175:176], v[44:45]
	v_add_f64_e32 v[80:81], v[199:200], v[80:81]
	;; [unrolled: 1-line block ×40, first 2 shown]
	v_mad_u32_u24 v52, 0xc0, v60, v160
	ds_store_b128 v52, v[0:3] offset:160
	ds_store_b128 v52, v[4:7] offset:176
	;; [unrolled: 1-line block ×11, first 2 shown]
	ds_store_b128 v52, v[8:11]
	ds_store_b128 v52, v[44:47] offset:192
.LBB0_13:
	s_or_b32 exec_lo, exec_lo, s33
	global_wb scope:SCOPE_SE
	s_wait_dscnt 0x0
	s_barrier_signal -1
	s_barrier_wait -1
	global_inv scope:SCOPE_SE
	ds_load_b128 v[16:19], v160
	ds_load_b128 v[24:27], v160 offset:2496
	ds_load_b128 v[8:11], v160 offset:16224
	;; [unrolled: 1-line block ×9, first 2 shown]
	v_cmp_gt_u32_e64 s0, 0x4e, v60
	s_delay_alu instid0(VALU_DEP_1)
	s_and_saveexec_b32 s1, s0
	s_cbranch_execz .LBB0_15
; %bb.14:
	ds_load_b128 v[0:3], v160 offset:12480
	ds_load_b128 v[4:7], v160 offset:26208
.LBB0_15:
	s_wait_alu 0xfffe
	s_or_b32 exec_lo, exec_lo, s1
	v_and_b32_e32 v49, 0xff, v60
	v_add_nc_u32_e32 v52, 0x138, v60
	v_add_nc_u32_e32 v48, 0x9c, v60
	;; [unrolled: 1-line block ×4, first 2 shown]
	v_mul_lo_u16 v50, 0x4f, v49
	v_and_b32_e32 v51, 0xffff, v52
	v_add_nc_u32_e32 v55, 0x30c, v60
	v_and_b32_e32 v49, 0xffff, v48
	v_and_b32_e32 v56, 0xffff, v53
	v_lshrrev_b16 v59, 10, v50
	v_and_b32_e32 v57, 0xffff, v54
	v_mul_u32_u24_e32 v51, 0x4ec5, v51
	v_and_b32_e32 v58, 0xffff, v55
	v_mul_u32_u24_e32 v49, 0x4ec5, v49
	v_mul_lo_u16 v61, v59, 13
	v_mul_u32_u24_e32 v56, 0x4ec5, v56
	v_mul_u32_u24_e32 v57, 0x4ec5, v57
	v_lshrrev_b32_e32 v95, 18, v51
	v_mul_u32_u24_e32 v58, 0x4ec5, v58
	v_sub_nc_u16 v61, v60, v61
	v_lshrrev_b32_e32 v94, 18, v49
	v_lshrrev_b32_e32 v96, 18, v56
	;; [unrolled: 1-line block ×4, first 2 shown]
	v_and_b32_e32 v57, 0xff, v61
	v_mul_lo_u16 v61, v95, 13
	v_mul_lo_u16 v56, v94, 13
	;; [unrolled: 1-line block ×3, first 2 shown]
	s_delay_alu instid0(VALU_DEP_4) | instskip(NEXT) | instid1(VALU_DEP_4)
	v_lshlrev_b32_e32 v98, 4, v57
	v_sub_nc_u16 v52, v52, v61
	v_mul_lo_u16 v57, v97, 13
	v_mul_lo_u16 v61, v51, 13
	v_sub_nc_u16 v56, v48, v56
	v_sub_nc_u16 v53, v53, v58
	v_and_b32_e32 v52, 0xffff, v52
	v_sub_nc_u16 v54, v54, v57
	v_sub_nc_u16 v55, v55, v61
	v_and_b32_e32 v56, 0xffff, v56
	v_and_b32_e32 v57, 0xffff, v53
	v_lshlrev_b32_e32 v99, 4, v52
	v_and_b32_e32 v52, 0xffff, v54
	v_and_b32_e32 v58, 0xffff, v55
	v_lshlrev_b32_e32 v61, 4, v56
	v_lshlrev_b32_e32 v100, 4, v57
	global_load_b128 v[53:56], v98, s[4:5]
	v_lshlrev_b32_e32 v101, 4, v52
	v_lshlrev_b32_e32 v52, 4, v58
	s_clause 0x4
	global_load_b128 v[64:67], v61, s[4:5]
	global_load_b128 v[68:71], v99, s[4:5]
	;; [unrolled: 1-line block ×5, first 2 shown]
	global_wb scope:SCOPE_SE
	s_wait_loadcnt_dscnt 0x0
	s_barrier_signal -1
	s_barrier_wait -1
	global_inv scope:SCOPE_SE
	v_mul_f64_e32 v[57:58], v[46:47], v[55:56]
	v_mul_f64_e32 v[55:56], v[44:45], v[55:56]
	;; [unrolled: 1-line block ×12, first 2 shown]
	v_fma_f64 v[44:45], v[44:45], v[53:54], -v[57:58]
	v_fma_f64 v[46:47], v[46:47], v[53:54], v[55:56]
	v_fma_f64 v[8:9], v[8:9], v[64:65], -v[84:85]
	v_fma_f64 v[10:11], v[10:11], v[64:65], v[66:67]
	;; [unrolled: 2-line block ×6, first 2 shown]
	v_add_f64_e64 v[40:41], v[16:17], -v[44:45]
	v_add_f64_e64 v[42:43], v[18:19], -v[46:47]
	;; [unrolled: 1-line block ×12, first 2 shown]
	v_fma_f64 v[64:65], v[16:17], 2.0, -v[40:41]
	v_fma_f64 v[66:67], v[18:19], 2.0, -v[42:43]
	;; [unrolled: 1-line block ×12, first 2 shown]
	v_and_b32_e32 v28, 0xffff, v59
	v_mul_u32_u24_e32 v29, 0x1a0, v94
	v_mul_u32_u24_e32 v30, 0x1a0, v95
	;; [unrolled: 1-line block ×5, first 2 shown]
	v_add3_u32 v29, 0, v29, v61
	v_add3_u32 v30, 0, v30, v99
	;; [unrolled: 1-line block ×5, first 2 shown]
	ds_store_b128 v28, v[64:67]
	ds_store_b128 v28, v[40:43] offset:208
	ds_store_b128 v29, v[24:27]
	ds_store_b128 v29, v[44:47] offset:208
	;; [unrolled: 2-line block ×5, first 2 shown]
	s_and_saveexec_b32 s1, s0
	s_cbranch_execz .LBB0_17
; %bb.16:
	v_mul_lo_u16 v24, v51, 26
	s_delay_alu instid0(VALU_DEP_1) | instskip(NEXT) | instid1(VALU_DEP_1)
	v_and_b32_e32 v24, 0xffff, v24
	v_lshlrev_b32_e32 v24, 4, v24
	s_delay_alu instid0(VALU_DEP_1)
	v_add3_u32 v24, 0, v52, v24
	ds_store_b128 v24, v[0:3]
	ds_store_b128 v24, v[20:23] offset:208
.LBB0_17:
	s_wait_alu 0xfffe
	s_or_b32 exec_lo, exec_lo, s1
	global_wb scope:SCOPE_SE
	s_wait_dscnt 0x0
	s_barrier_signal -1
	s_barrier_wait -1
	global_inv scope:SCOPE_SE
	ds_load_b128 v[24:27], v160
	ds_load_b128 v[36:39], v160 offset:4576
	ds_load_b128 v[28:31], v160 offset:9152
	ds_load_b128 v[40:43], v160 offset:13728
	ds_load_b128 v[32:35], v160 offset:18304
	ds_load_b128 v[44:47], v160 offset:22880
	v_cmp_gt_u32_e64 s1, 0x82, v60
	s_delay_alu instid0(VALU_DEP_1)
	s_and_saveexec_b32 s2, s1
	s_cbranch_execz .LBB0_19
; %bb.18:
	ds_load_b128 v[4:7], v160 offset:2496
	ds_load_b128 v[8:11], v160 offset:7072
	;; [unrolled: 1-line block ×6, first 2 shown]
.LBB0_19:
	s_wait_alu 0xfffe
	s_or_b32 exec_lo, exec_lo, s2
	v_lshrrev_b16 v61, 11, v50
	s_mov_b32 s2, 0xe8584caa
	s_mov_b32 s3, 0x3febb67a
	s_mov_b32 s7, 0xbfebb67a
	s_wait_alu 0xfffe
	s_mov_b32 s6, s2
	v_mul_lo_u16 v50, v61, 26
	s_delay_alu instid0(VALU_DEP_1) | instskip(NEXT) | instid1(VALU_DEP_1)
	v_sub_nc_u16 v50, v60, v50
	v_and_b32_e32 v80, 0xff, v50
	s_delay_alu instid0(VALU_DEP_1) | instskip(NEXT) | instid1(VALU_DEP_1)
	v_mul_u32_u24_e32 v50, 5, v80
	v_lshlrev_b32_e32 v58, 4, v50
	s_clause 0x4
	global_load_b128 v[50:53], v58, s[4:5] offset:240
	global_load_b128 v[54:57], v58, s[4:5] offset:272
	;; [unrolled: 1-line block ×5, first 2 shown]
	global_wb scope:SCOPE_SE
	s_wait_loadcnt_dscnt 0x0
	s_barrier_signal -1
	s_barrier_wait -1
	global_inv scope:SCOPE_SE
	v_mul_f64_e32 v[58:59], v[42:43], v[52:53]
	v_mul_f64_e32 v[52:53], v[40:41], v[52:53]
	;; [unrolled: 1-line block ×6, first 2 shown]
	v_fma_f64 v[40:41], v[40:41], v[50:51], -v[58:59]
	v_fma_f64 v[42:43], v[42:43], v[50:51], v[52:53]
	v_fma_f64 v[46:47], v[46:47], v[54:55], v[76:77]
	v_fma_f64 v[44:45], v[44:45], v[54:55], -v[56:57]
	v_mul_f64_e32 v[50:51], v[30:31], v[70:71]
	v_mul_f64_e32 v[52:53], v[28:29], v[70:71]
	;; [unrolled: 1-line block ×4, first 2 shown]
	v_fma_f64 v[36:37], v[36:37], v[64:65], -v[78:79]
	v_fma_f64 v[38:39], v[38:39], v[64:65], v[66:67]
	v_add_f64_e32 v[58:59], v[42:43], v[46:47]
	v_add_f64_e32 v[64:65], v[40:41], v[44:45]
	v_fma_f64 v[28:29], v[28:29], v[68:69], -v[50:51]
	v_fma_f64 v[30:31], v[30:31], v[68:69], v[52:53]
	v_fma_f64 v[32:33], v[32:33], v[72:73], -v[54:55]
	v_fma_f64 v[34:35], v[34:35], v[72:73], v[56:57]
	v_add_f64_e64 v[50:51], v[42:43], -v[46:47]
	v_add_f64_e64 v[52:53], v[40:41], -v[44:45]
	v_fma_f64 v[54:55], v[58:59], -0.5, v[38:39]
	v_fma_f64 v[56:57], v[64:65], -0.5, v[36:37]
	v_add_f64_e32 v[36:37], v[36:37], v[40:41]
	v_add_f64_e32 v[38:39], v[38:39], v[42:43]
	;; [unrolled: 1-line block ×4, first 2 shown]
	s_wait_alu 0xfffe
	v_fma_f64 v[66:67], v[52:53], s[6:7], v[54:55]
	v_fma_f64 v[68:69], v[50:51], s[6:7], v[56:57]
	;; [unrolled: 1-line block ×4, first 2 shown]
	v_add_f64_e32 v[54:55], v[24:25], v[28:29]
	v_add_f64_e64 v[56:57], v[30:31], -v[34:35]
	v_add_f64_e32 v[30:31], v[26:27], v[30:31]
	v_fma_f64 v[24:25], v[58:59], -0.5, v[24:25]
	v_add_f64_e64 v[28:29], v[28:29], -v[32:33]
	v_fma_f64 v[26:27], v[64:65], -0.5, v[26:27]
	v_mul_f64_e32 v[40:41], s[2:3], v[66:67]
	v_mul_f64_e32 v[42:43], -0.5, v[68:69]
	v_mul_f64_e32 v[58:59], s[6:7], v[50:51]
	v_mul_f64_e32 v[64:65], -0.5, v[52:53]
	v_add_f64_e32 v[32:33], v[54:55], v[32:33]
	v_add_f64_e32 v[30:31], v[30:31], v[34:35]
	;; [unrolled: 1-line block ×4, first 2 shown]
	v_fma_f64 v[44:45], v[56:57], s[2:3], v[24:25]
	v_fma_f64 v[54:55], v[28:29], s[6:7], v[26:27]
	;; [unrolled: 1-line block ×4, first 2 shown]
	v_fma_f64 v[40:41], v[50:51], 0.5, v[40:41]
	v_fma_f64 v[42:43], v[52:53], s[2:3], v[42:43]
	v_fma_f64 v[50:51], v[66:67], 0.5, v[58:59]
	v_fma_f64 v[52:53], v[68:69], s[6:7], v[64:65]
	v_add_f64_e32 v[24:25], v[32:33], v[34:35]
	v_add_f64_e32 v[26:27], v[30:31], v[36:37]
	v_add_f64_e64 v[28:29], v[32:33], -v[34:35]
	v_add_f64_e64 v[30:31], v[30:31], -v[36:37]
	v_add_f64_e32 v[32:33], v[44:45], v[40:41]
	v_add_f64_e32 v[36:37], v[46:47], v[42:43]
	;; [unrolled: 1-line block ×4, first 2 shown]
	v_add_f64_e64 v[40:41], v[44:45], -v[40:41]
	v_add_f64_e64 v[44:45], v[46:47], -v[42:43]
	;; [unrolled: 1-line block ×4, first 2 shown]
	v_and_b32_e32 v50, 0xffff, v61
	v_lshlrev_b32_e32 v51, 4, v80
	s_delay_alu instid0(VALU_DEP_2) | instskip(NEXT) | instid1(VALU_DEP_1)
	v_mul_u32_u24_e32 v50, 0x9c0, v50
	v_add3_u32 v50, 0, v50, v51
	ds_store_b128 v50, v[24:27]
	ds_store_b128 v50, v[32:35] offset:416
	ds_store_b128 v50, v[36:39] offset:832
	;; [unrolled: 1-line block ×5, first 2 shown]
	s_and_saveexec_b32 s10, s1
	s_cbranch_execz .LBB0_21
; %bb.20:
	v_lshrrev_b32_e32 v50, 19, v49
	s_delay_alu instid0(VALU_DEP_1) | instskip(NEXT) | instid1(VALU_DEP_1)
	v_mul_lo_u16 v24, v50, 26
	v_sub_nc_u16 v24, v48, v24
	s_delay_alu instid0(VALU_DEP_1) | instskip(NEXT) | instid1(VALU_DEP_1)
	v_and_b32_e32 v51, 0xffff, v24
	v_mul_u32_u24_e32 v24, 5, v51
	s_delay_alu instid0(VALU_DEP_1)
	v_lshlrev_b32_e32 v40, 4, v24
	s_clause 0x4
	global_load_b128 v[24:27], v40, s[4:5] offset:240
	global_load_b128 v[28:31], v40, s[4:5] offset:272
	;; [unrolled: 1-line block ×5, first 2 shown]
	s_wait_loadcnt 0x4
	v_mul_f64_e32 v[44:45], v[12:13], v[26:27]
	s_wait_loadcnt 0x3
	v_mul_f64_e32 v[46:47], v[20:21], v[30:31]
	v_mul_f64_e32 v[26:27], v[14:15], v[26:27]
	;; [unrolled: 1-line block ×3, first 2 shown]
	s_wait_loadcnt 0x2
	v_mul_f64_e32 v[48:49], v[10:11], v[34:35]
	v_mul_f64_e32 v[34:35], v[8:9], v[34:35]
	v_fma_f64 v[14:15], v[14:15], v[24:25], v[44:45]
	v_fma_f64 v[22:23], v[22:23], v[28:29], v[46:47]
	v_fma_f64 v[12:13], v[12:13], v[24:25], -v[26:27]
	v_fma_f64 v[20:21], v[20:21], v[28:29], -v[30:31]
	s_wait_loadcnt 0x1
	v_mul_f64_e32 v[24:25], v[18:19], v[38:39]
	v_mul_f64_e32 v[26:27], v[16:17], v[38:39]
	s_wait_loadcnt 0x0
	v_mul_f64_e32 v[28:29], v[0:1], v[42:43]
	v_mul_f64_e32 v[30:31], v[2:3], v[42:43]
	v_fma_f64 v[10:11], v[10:11], v[32:33], v[34:35]
	v_fma_f64 v[8:9], v[8:9], v[32:33], -v[48:49]
	v_add_f64_e32 v[34:35], v[14:15], v[22:23]
	v_add_f64_e32 v[32:33], v[12:13], v[20:21]
	v_fma_f64 v[16:17], v[16:17], v[36:37], -v[24:25]
	v_fma_f64 v[18:19], v[18:19], v[36:37], v[26:27]
	v_fma_f64 v[2:3], v[2:3], v[40:41], v[28:29]
	v_fma_f64 v[0:1], v[0:1], v[40:41], -v[30:31]
	v_add_f64_e64 v[24:25], v[12:13], -v[20:21]
	v_add_f64_e64 v[28:29], v[14:15], -v[22:23]
	v_fma_f64 v[26:27], v[34:35], -0.5, v[10:11]
	v_add_f64_e32 v[10:11], v[10:11], v[14:15]
	v_fma_f64 v[30:31], v[32:33], -0.5, v[8:9]
	v_add_f64_e32 v[14:15], v[4:5], v[16:17]
	v_add_f64_e32 v[8:9], v[8:9], v[12:13]
	;; [unrolled: 1-line block ×4, first 2 shown]
	v_add_f64_e64 v[12:13], v[18:19], -v[2:3]
	v_fma_f64 v[36:37], v[24:25], s[2:3], v[26:27]
	v_fma_f64 v[24:25], v[24:25], s[6:7], v[26:27]
	;; [unrolled: 1-line block ×4, first 2 shown]
	v_add_f64_e32 v[30:31], v[6:7], v[18:19]
	v_add_f64_e64 v[28:29], v[16:17], -v[0:1]
	v_fma_f64 v[6:7], v[32:33], -0.5, v[6:7]
	v_fma_f64 v[4:5], v[34:35], -0.5, v[4:5]
	v_add_f64_e32 v[10:11], v[10:11], v[22:23]
	v_add_f64_e32 v[14:15], v[14:15], v[0:1]
	;; [unrolled: 1-line block ×3, first 2 shown]
	v_mul_f64_e32 v[16:17], -0.5, v[36:37]
	v_mul_f64_e32 v[32:33], s[2:3], v[24:25]
	v_mul_f64_e32 v[18:19], s[6:7], v[38:39]
	v_mul_f64_e32 v[34:35], -0.5, v[26:27]
	v_add_f64_e32 v[30:31], v[30:31], v[2:3]
	v_fma_f64 v[20:21], v[28:29], s[2:3], v[6:7]
	v_fma_f64 v[22:23], v[28:29], s[6:7], v[6:7]
	;; [unrolled: 1-line block ×3, first 2 shown]
	v_add_f64_e64 v[0:1], v[14:15], -v[8:9]
	v_fma_f64 v[16:17], v[26:27], s[6:7], v[16:17]
	v_fma_f64 v[26:27], v[12:13], s[2:3], v[4:5]
	v_fma_f64 v[24:25], v[24:25], 0.5, v[18:19]
	v_fma_f64 v[32:33], v[38:39], 0.5, v[32:33]
	v_fma_f64 v[34:35], v[36:37], s[2:3], v[34:35]
	v_add_f64_e32 v[6:7], v[30:31], v[10:11]
	v_add_f64_e32 v[4:5], v[14:15], v[8:9]
	v_add_f64_e64 v[2:3], v[30:31], -v[10:11]
	v_add_f64_e64 v[10:11], v[20:21], -v[16:17]
	v_add_f64_e32 v[14:15], v[20:21], v[16:17]
	v_add_f64_e32 v[18:19], v[22:23], v[24:25]
	;; [unrolled: 1-line block ×4, first 2 shown]
	v_add_f64_e64 v[22:23], v[22:23], -v[24:25]
	v_add_f64_e64 v[20:21], v[26:27], -v[32:33]
	;; [unrolled: 1-line block ×3, first 2 shown]
	v_mul_lo_u16 v24, 0x9c, v50
	v_lshlrev_b32_e32 v25, 4, v51
	s_delay_alu instid0(VALU_DEP_2) | instskip(NEXT) | instid1(VALU_DEP_1)
	v_and_b32_e32 v24, 0xffff, v24
	v_lshlrev_b32_e32 v24, 4, v24
	s_delay_alu instid0(VALU_DEP_1)
	v_add3_u32 v24, 0, v25, v24
	ds_store_b128 v24, v[4:7]
	ds_store_b128 v24, v[16:19] offset:416
	ds_store_b128 v24, v[12:15] offset:832
	;; [unrolled: 1-line block ×5, first 2 shown]
.LBB0_21:
	s_wait_alu 0xfffe
	s_or_b32 exec_lo, exec_lo, s10
	v_mul_u32_u24_e32 v0, 10, v60
	global_wb scope:SCOPE_SE
	s_wait_dscnt 0x0
	s_barrier_signal -1
	s_barrier_wait -1
	global_inv scope:SCOPE_SE
	v_lshlrev_b32_e32 v4, 4, v0
	s_mov_b32 s20, 0xf8bb580b
	s_mov_b32 s21, 0xbfe14ced
	;; [unrolled: 1-line block ×4, first 2 shown]
	s_clause 0x9
	global_load_b128 v[0:3], v4, s[4:5] offset:2288
	global_load_b128 v[6:9], v4, s[4:5] offset:2432
	;; [unrolled: 1-line block ×10, first 2 shown]
	ds_load_b128 v[42:45], v160 offset:2496
	ds_load_b128 v[46:49], v160 offset:24960
	;; [unrolled: 1-line block ×10, first 2 shown]
	s_mov_b32 s18, 0x43842ef
	s_mov_b32 s19, 0xbfefac9e
	;; [unrolled: 1-line block ×12, first 2 shown]
	s_wait_alu 0xfffe
	s_mov_b32 s26, s20
	s_mov_b32 s11, 0xbfc2375f
	;; [unrolled: 1-line block ×10, first 2 shown]
	s_wait_loadcnt_dscnt 0x909
	v_mul_f64_e32 v[4:5], v[44:45], v[2:3]
	v_mul_f64_e32 v[2:3], v[42:43], v[2:3]
	s_wait_loadcnt_dscnt 0x808
	v_mul_f64_e32 v[58:59], v[46:47], v[8:9]
	v_mul_f64_e32 v[8:9], v[48:49], v[8:9]
	;; [unrolled: 3-line block ×7, first 2 shown]
	s_wait_loadcnt 0x2
	v_mul_f64_e32 v[98:99], v[74:75], v[32:33]
	v_mul_f64_e32 v[32:33], v[72:73], v[32:33]
	s_wait_loadcnt_dscnt 0x101
	v_mul_f64_e32 v[100:101], v[82:83], v[36:37]
	v_mul_f64_e32 v[36:37], v[80:81], v[36:37]
	s_wait_loadcnt_dscnt 0x0
	v_mul_f64_e32 v[102:103], v[86:87], v[40:41]
	v_mul_f64_e32 v[40:41], v[84:85], v[40:41]
	v_fma_f64 v[42:43], v[42:43], v[0:1], -v[4:5]
	v_fma_f64 v[44:45], v[44:45], v[0:1], v[2:3]
	ds_load_b128 v[0:3], v160
	v_fma_f64 v[4:5], v[48:49], v[6:7], v[58:59]
	v_fma_f64 v[6:7], v[46:47], v[6:7], -v[8:9]
	v_fma_f64 v[46:47], v[50:51], v[10:11], -v[88:89]
	v_fma_f64 v[48:49], v[52:53], v[10:11], v[12:13]
	v_fma_f64 v[10:11], v[54:55], v[14:15], -v[16:17]
	v_fma_f64 v[52:53], v[64:65], v[18:19], -v[92:93]
	v_fma_f64 v[18:19], v[66:67], v[18:19], v[20:21]
	v_fma_f64 v[12:13], v[70:71], v[22:23], v[94:95]
	;; [unrolled: 1-line block ×3, first 2 shown]
	v_fma_f64 v[14:15], v[68:69], v[22:23], -v[24:25]
	v_fma_f64 v[20:21], v[76:77], v[26:27], -v[96:97]
	v_fma_f64 v[22:23], v[78:79], v[26:27], v[28:29]
	v_fma_f64 v[24:25], v[72:73], v[30:31], -v[98:99]
	v_fma_f64 v[26:27], v[74:75], v[30:31], v[32:33]
	;; [unrolled: 2-line block ×4, first 2 shown]
	global_wb scope:SCOPE_SE
	s_wait_dscnt 0x0
	s_barrier_signal -1
	s_barrier_wait -1
	global_inv scope:SCOPE_SE
	v_add_f64_e32 v[16:17], v[0:1], v[42:43]
	v_add_f64_e32 v[50:51], v[2:3], v[44:45]
	v_add_f64_e64 v[36:37], v[44:45], -v[4:5]
	v_add_f64_e64 v[38:39], v[42:43], -v[6:7]
	v_add_f64_e32 v[42:43], v[42:43], v[6:7]
	v_add_f64_e32 v[44:45], v[44:45], v[4:5]
	v_add_f64_e64 v[54:55], v[46:47], -v[10:11]
	v_add_f64_e64 v[56:57], v[18:19], -v[12:13]
	v_add_f64_e32 v[66:67], v[18:19], v[12:13]
	v_add_f64_e64 v[40:41], v[48:49], -v[8:9]
	v_add_f64_e64 v[58:59], v[52:53], -v[14:15]
	v_add_f64_e32 v[64:65], v[52:53], v[14:15]
	v_add_f64_e32 v[68:69], v[20:21], v[24:25]
	v_add_f64_e64 v[70:71], v[22:23], -v[26:27]
	v_add_f64_e64 v[72:73], v[20:21], -v[24:25]
	v_add_f64_e32 v[74:75], v[22:23], v[26:27]
	v_add_f64_e64 v[80:81], v[28:29], -v[32:33]
	v_add_f64_e32 v[76:77], v[28:29], v[32:33]
	v_add_f64_e32 v[78:79], v[30:31], v[34:35]
	v_add_f64_e64 v[82:83], v[30:31], -v[34:35]
	v_add_f64_e32 v[16:17], v[16:17], v[46:47]
	v_add_f64_e32 v[50:51], v[50:51], v[48:49]
	v_add_f64_e32 v[46:47], v[46:47], v[10:11]
	v_mul_f64_e32 v[84:85], s[20:21], v[36:37]
	v_mul_f64_e32 v[86:87], s[20:21], v[38:39]
	;; [unrolled: 1-line block ×12, first 2 shown]
	s_mov_b32 s17, 0x3fed1bb4
	v_add_f64_e32 v[48:49], v[48:49], v[8:9]
	v_mul_f64_e32 v[104:105], s[22:23], v[40:41]
	v_mul_f64_e32 v[106:107], s[22:23], v[54:55]
	;; [unrolled: 1-line block ×3, first 2 shown]
	s_wait_alu 0xfffe
	v_mul_f64_e32 v[150:151], s[26:27], v[80:81]
	v_mul_f64_e32 v[154:155], s[22:23], v[80:81]
	;; [unrolled: 1-line block ×18, first 2 shown]
	v_add_f64_e32 v[16:17], v[16:17], v[52:53]
	v_add_f64_e32 v[18:19], v[50:51], v[18:19]
	v_mul_f64_e32 v[50:51], s[28:29], v[40:41]
	v_mul_f64_e32 v[52:53], s[28:29], v[54:55]
	;; [unrolled: 1-line block ×3, first 2 shown]
	v_fma_f64 v[161:162], v[42:43], s[6:7], -v[88:89]
	v_fma_f64 v[163:164], v[44:45], s[6:7], v[90:91]
	v_fma_f64 v[88:89], v[42:43], s[6:7], v[88:89]
	v_fma_f64 v[165:166], v[42:43], s[10:11], -v[92:93]
	v_fma_f64 v[167:168], v[44:45], s[10:11], v[94:95]
	v_fma_f64 v[92:93], v[42:43], s[10:11], v[92:93]
	v_fma_f64 v[169:170], v[42:43], s[12:13], -v[96:97]
	v_fma_f64 v[171:172], v[44:45], s[12:13], v[98:99]
	v_mul_f64_e32 v[54:55], s[26:27], v[54:55]
	v_fma_f64 v[173:174], v[42:43], s[14:15], -v[36:37]
	v_fma_f64 v[175:176], v[44:45], s[14:15], v[38:39]
	v_fma_f64 v[96:97], v[42:43], s[12:13], v[96:97]
	;; [unrolled: 1-line block ×3, first 2 shown]
	v_fma_f64 v[38:39], v[44:45], s[14:15], -v[38:39]
	v_fma_f64 v[98:99], v[44:45], s[12:13], -v[98:99]
	v_fma_f64 v[94:95], v[44:45], s[10:11], -v[94:95]
	v_fma_f64 v[90:91], v[44:45], s[6:7], -v[90:91]
	v_fma_f64 v[177:178], v[46:47], s[12:13], -v[104:105]
	v_fma_f64 v[179:180], v[48:49], s[12:13], v[106:107]
	v_fma_f64 v[104:105], v[46:47], s[12:13], v[104:105]
	v_fma_f64 v[185:186], v[46:47], s[10:11], -v[108:109]
	v_fma_f64 v[187:188], v[48:49], s[10:11], v[110:111]
	v_fma_f64 v[108:109], v[46:47], s[10:11], v[108:109]
	v_fma_f64 v[106:107], v[48:49], s[12:13], -v[106:107]
	v_mul_f64_e32 v[134:135], s[30:31], v[72:73]
	v_fma_f64 v[189:190], v[64:65], s[14:15], -v[116:117]
	v_fma_f64 v[191:192], v[66:67], s[14:15], v[118:119]
	v_fma_f64 v[116:117], v[64:65], s[14:15], v[116:117]
	v_fma_f64 v[118:119], v[66:67], s[14:15], -v[118:119]
	v_fma_f64 v[193:194], v[64:65], s[2:3], -v[120:121]
	v_fma_f64 v[195:196], v[66:67], s[2:3], v[122:123]
	v_fma_f64 v[120:121], v[64:65], s[2:3], v[120:121]
	v_fma_f64 v[122:123], v[66:67], s[2:3], -v[122:123]
	v_add_f64_e32 v[16:17], v[16:17], v[20:21]
	v_add_f64_e32 v[18:19], v[18:19], v[22:23]
	v_mul_f64_e32 v[20:21], s[16:17], v[80:81]
	v_fma_f64 v[22:23], v[42:43], s[2:3], -v[84:85]
	v_fma_f64 v[80:81], v[44:45], s[2:3], v[86:87]
	v_fma_f64 v[84:85], v[42:43], s[2:3], v[84:85]
	v_fma_f64 v[86:87], v[44:45], s[2:3], -v[86:87]
	v_fma_f64 v[42:43], v[46:47], s[6:7], -v[100:101]
	v_fma_f64 v[44:45], v[48:49], s[6:7], v[102:103]
	v_fma_f64 v[100:101], v[46:47], s[6:7], v[100:101]
	v_fma_f64 v[102:103], v[48:49], s[6:7], -v[102:103]
	v_add_f64_e32 v[161:162], v[0:1], v[161:162]
	v_add_f64_e32 v[163:164], v[2:3], v[163:164]
	v_fma_f64 v[181:182], v[46:47], s[14:15], -v[50:51]
	v_fma_f64 v[183:184], v[48:49], s[14:15], v[52:53]
	v_add_f64_e32 v[88:89], v[0:1], v[88:89]
	v_add_f64_e32 v[165:166], v[0:1], v[165:166]
	v_add_f64_e32 v[167:168], v[2:3], v[167:168]
	v_fma_f64 v[50:51], v[46:47], s[14:15], v[50:51]
	v_add_f64_e32 v[92:93], v[0:1], v[92:93]
	v_add_f64_e32 v[169:170], v[0:1], v[169:170]
	;; [unrolled: 1-line block ×6, first 2 shown]
	v_fma_f64 v[52:53], v[48:49], s[14:15], -v[52:53]
	v_add_f64_e32 v[94:95], v[2:3], v[94:95]
	v_add_f64_e32 v[90:91], v[2:3], v[90:91]
	v_fma_f64 v[201:202], v[64:65], s[6:7], -v[56:57]
	v_fma_f64 v[203:204], v[66:67], s[6:7], v[58:59]
	v_fma_f64 v[56:57], v[64:65], s[6:7], v[56:57]
	v_fma_f64 v[58:59], v[66:67], s[6:7], -v[58:59]
	v_mul_f64_e32 v[136:137], s[20:21], v[70:71]
	v_mul_f64_e32 v[138:139], s[20:21], v[72:73]
	;; [unrolled: 1-line block ×6, first 2 shown]
	v_add_f64_e32 v[16:17], v[16:17], v[28:29]
	v_add_f64_e32 v[18:19], v[18:19], v[30:31]
	v_fma_f64 v[28:29], v[48:49], s[10:11], -v[110:111]
	v_add_f64_e32 v[22:23], v[0:1], v[22:23]
	v_fma_f64 v[30:31], v[46:47], s[2:3], -v[40:41]
	v_add_f64_e32 v[84:85], v[0:1], v[84:85]
	v_add_f64_e32 v[86:87], v[2:3], v[86:87]
	v_fma_f64 v[110:111], v[48:49], s[2:3], v[54:55]
	v_fma_f64 v[40:41], v[46:47], s[2:3], v[40:41]
	v_fma_f64 v[46:47], v[48:49], s[2:3], -v[54:55]
	v_add_f64_e32 v[0:1], v[0:1], v[36:37]
	v_add_f64_e32 v[36:37], v[2:3], v[38:39]
	;; [unrolled: 1-line block ×4, first 2 shown]
	v_fma_f64 v[48:49], v[64:65], s[10:11], -v[112:113]
	v_fma_f64 v[54:55], v[66:67], s[10:11], v[114:115]
	v_fma_f64 v[112:113], v[64:65], s[10:11], v[112:113]
	v_fma_f64 v[114:115], v[66:67], s[10:11], -v[114:115]
	v_fma_f64 v[80:81], v[64:65], s[12:13], v[124:125]
	v_fma_f64 v[98:99], v[66:67], s[12:13], -v[126:127]
	v_add_f64_e32 v[50:51], v[50:51], v[92:93]
	v_add_f64_e32 v[92:93], v[185:186], v[169:170]
	v_mul_f64_e32 v[148:149], s[26:27], v[82:83]
	v_fma_f64 v[197:198], v[68:69], s[10:11], -v[132:133]
	v_add_f64_e32 v[96:97], v[108:109], v[96:97]
	v_fma_f64 v[199:200], v[74:75], s[10:11], v[134:135]
	v_mul_f64_e32 v[144:145], s[24:25], v[82:83]
	v_mul_f64_e32 v[152:153], s[22:23], v[82:83]
	v_fma_f64 v[132:133], v[68:69], s[10:11], v[132:133]
	v_fma_f64 v[134:135], v[74:75], s[10:11], -v[134:135]
	v_mul_f64_e32 v[156:157], s[18:19], v[82:83]
	v_mul_f64_e32 v[82:83], s[16:17], v[82:83]
	v_add_f64_e32 v[16:17], v[16:17], v[32:33]
	v_add_f64_e32 v[18:19], v[18:19], v[34:35]
	v_fma_f64 v[32:33], v[64:65], s[12:13], -v[124:125]
	v_fma_f64 v[34:35], v[66:67], s[12:13], v[126:127]
	v_add_f64_e32 v[22:23], v[42:43], v[22:23]
	v_add_f64_e32 v[42:43], v[100:101], v[84:85]
	;; [unrolled: 1-line block ×17, first 2 shown]
	v_fma_f64 v[124:125], v[68:69], s[12:13], -v[128:129]
	v_fma_f64 v[126:127], v[74:75], s[12:13], v[130:131]
	v_fma_f64 v[128:129], v[68:69], s[12:13], v[128:129]
	v_fma_f64 v[130:131], v[74:75], s[12:13], -v[130:131]
	v_fma_f64 v[44:45], v[68:69], s[2:3], v[136:137]
	v_fma_f64 v[46:47], v[74:75], s[2:3], -v[138:139]
	v_fma_f64 v[52:53], v[68:69], s[14:15], -v[140:141]
	v_fma_f64 v[90:91], v[74:75], s[14:15], v[142:143]
	v_fma_f64 v[94:95], v[68:69], s[14:15], v[140:141]
	v_fma_f64 v[106:107], v[74:75], s[14:15], -v[142:143]
	v_fma_f64 v[140:141], v[68:69], s[6:7], -v[70:71]
	v_fma_f64 v[142:143], v[74:75], s[6:7], v[72:73]
	v_add_f64_e32 v[50:51], v[56:57], v[50:51]
	v_add_f64_e32 v[56:57], v[193:194], v[92:93]
	v_fma_f64 v[110:111], v[78:79], s[14:15], v[146:147]
	v_fma_f64 v[108:109], v[76:77], s[14:15], -v[144:145]
	v_fma_f64 v[92:93], v[76:77], s[12:13], v[152:153]
	v_add_f64_e32 v[16:17], v[16:17], v[24:25]
	v_add_f64_e32 v[18:19], v[18:19], v[26:27]
	v_fma_f64 v[24:25], v[68:69], s[2:3], -v[136:137]
	v_fma_f64 v[26:27], v[74:75], s[2:3], v[138:139]
	v_add_f64_e32 v[22:23], v[48:49], v[22:23]
	v_add_f64_e32 v[42:43], v[112:113], v[42:43]
	;; [unrolled: 1-line block ×5, first 2 shown]
	v_fma_f64 v[68:69], v[68:69], s[6:7], v[70:71]
	v_fma_f64 v[70:71], v[74:75], s[6:7], -v[72:73]
	v_add_f64_e32 v[74:75], v[201:202], v[88:89]
	v_add_f64_e32 v[84:85], v[203:204], v[100:101]
	;; [unrolled: 1-line block ×13, first 2 shown]
	v_fma_f64 v[138:139], v[78:79], s[14:15], -v[146:147]
	v_fma_f64 v[54:55], v[78:79], s[2:3], -v[150:151]
	v_fma_f64 v[80:81], v[78:79], s[12:13], v[154:155]
	v_fma_f64 v[96:97], v[78:79], s[12:13], -v[154:155]
	v_fma_f64 v[100:101], v[78:79], s[10:11], v[158:159]
	;; [unrolled: 2-line block ×3, first 2 shown]
	v_fma_f64 v[136:137], v[76:77], s[14:15], v[144:145]
	v_fma_f64 v[58:59], v[76:77], s[12:13], -v[152:153]
	v_fma_f64 v[112:113], v[76:77], s[6:7], -v[82:83]
	v_add_f64_e32 v[44:45], v[44:45], v[50:51]
	v_add_f64_e32 v[50:51], v[52:53], v[56:57]
	v_fma_f64 v[98:99], v[76:77], s[10:11], -v[156:157]
	v_fma_f64 v[40:41], v[76:77], s[2:3], v[148:149]
	v_add_f64_e32 v[14:15], v[16:17], v[14:15]
	v_add_f64_e32 v[12:13], v[18:19], v[12:13]
	v_fma_f64 v[16:17], v[76:77], s[2:3], -v[148:149]
	v_fma_f64 v[18:19], v[78:79], s[2:3], v[150:151]
	v_fma_f64 v[78:79], v[78:79], s[6:7], -v[20:21]
	v_add_f64_e32 v[20:21], v[124:125], v[22:23]
	v_add_f64_e32 v[22:23], v[128:129], v[42:43]
	;; [unrolled: 1-line block ×5, first 2 shown]
	v_fma_f64 v[102:103], v[76:77], s[10:11], v[156:157]
	v_add_f64_e32 v[24:25], v[24:25], v[74:75]
	v_add_f64_e32 v[26:27], v[26:27], v[84:85]
	;; [unrolled: 1-line block ×8, first 2 shown]
	v_fma_f64 v[76:77], v[76:77], s[6:7], v[82:83]
	v_add_f64_e32 v[56:57], v[94:95], v[88:89]
	v_add_f64_e32 v[70:71], v[106:107], v[28:29]
	;; [unrolled: 1-line block ×5, first 2 shown]
	s_mov_b32 s2, exec_lo
	v_add_f64_e32 v[28:29], v[112:113], v[50:51]
	v_add_f64_e32 v[84:85], v[14:15], v[10:11]
	;; [unrolled: 1-line block ×24, first 2 shown]
	ds_store_b128 v160, v[12:15] offset:4992
	ds_store_b128 v160, v[20:23] offset:7488
	;; [unrolled: 1-line block ×9, first 2 shown]
	ds_store_b128 v160, v[44:47]
	ds_store_b128 v160, v[0:3] offset:2496
	global_wb scope:SCOPE_SE
	s_wait_dscnt 0x0
	s_barrier_signal -1
	s_barrier_wait -1
	global_inv scope:SCOPE_SE
	ds_load_b128 v[4:7], v160
	v_lshlrev_b32_e32 v0, 4, v60
                                        ; implicit-def: $vgpr2_vgpr3
                                        ; implicit-def: $vgpr8_vgpr9
                                        ; implicit-def: $vgpr10_vgpr11
	s_delay_alu instid0(VALU_DEP_1)
	v_sub_nc_u32_e32 v12, 0, v0
	v_cmpx_ne_u32_e32 0, v60
	s_wait_alu 0xfffe
	s_xor_b32 s2, exec_lo, s2
	s_cbranch_execz .LBB0_23
; %bb.22:
	v_mov_b32_e32 v61, 0
	s_delay_alu instid0(VALU_DEP_1) | instskip(NEXT) | instid1(VALU_DEP_1)
	v_lshlrev_b64_e32 v[0:1], 4, v[60:61]
	v_add_co_u32 v0, s1, s4, v0
	s_wait_alu 0xf1ff
	s_delay_alu instid0(VALU_DEP_2)
	v_add_co_ci_u32_e64 v1, s1, s5, v1, s1
	global_load_b128 v[13:16], v[0:1], off offset:27248
	ds_load_b128 v[0:3], v12 offset:27456
	s_wait_dscnt 0x0
	v_add_f64_e64 v[8:9], v[4:5], -v[0:1]
	v_add_f64_e32 v[10:11], v[6:7], v[2:3]
	v_add_f64_e64 v[2:3], v[6:7], -v[2:3]
	v_add_f64_e32 v[0:1], v[4:5], v[0:1]
	s_delay_alu instid0(VALU_DEP_4) | instskip(NEXT) | instid1(VALU_DEP_4)
	v_mul_f64_e32 v[6:7], 0.5, v[8:9]
	v_mul_f64_e32 v[4:5], 0.5, v[10:11]
	s_delay_alu instid0(VALU_DEP_4) | instskip(SKIP_1) | instid1(VALU_DEP_3)
	v_mul_f64_e32 v[2:3], 0.5, v[2:3]
	s_wait_loadcnt 0x0
	v_mul_f64_e32 v[8:9], v[6:7], v[15:16]
	s_delay_alu instid0(VALU_DEP_2) | instskip(SKIP_1) | instid1(VALU_DEP_3)
	v_fma_f64 v[10:11], v[4:5], v[15:16], v[2:3]
	v_fma_f64 v[2:3], v[4:5], v[15:16], -v[2:3]
	v_fma_f64 v[17:18], v[0:1], 0.5, v[8:9]
	v_fma_f64 v[0:1], v[0:1], 0.5, -v[8:9]
	s_delay_alu instid0(VALU_DEP_4) | instskip(NEXT) | instid1(VALU_DEP_4)
	v_fma_f64 v[8:9], -v[13:14], v[6:7], v[10:11]
	v_fma_f64 v[2:3], -v[13:14], v[6:7], v[2:3]
	v_dual_mov_b32 v10, v60 :: v_dual_mov_b32 v11, v61
	v_fma_f64 v[15:16], v[4:5], v[13:14], v[17:18]
	v_fma_f64 v[0:1], -v[4:5], v[13:14], v[0:1]
                                        ; implicit-def: $vgpr4_vgpr5
	ds_store_b64 v160, v[15:16]
.LBB0_23:
	s_wait_alu 0xfffe
	s_and_not1_saveexec_b32 s1, s2
	s_cbranch_execz .LBB0_25
; %bb.24:
	s_wait_dscnt 0x0
	v_add_f64_e32 v[13:14], v[4:5], v[6:7]
	v_add_f64_e64 v[0:1], v[4:5], -v[6:7]
	v_mov_b32_e32 v6, 0
	v_mov_b32_e32 v8, 0
	v_dual_mov_b32 v9, 0 :: v_dual_mov_b32 v10, 0
	s_delay_alu instid0(VALU_DEP_2)
	v_mov_b32_e32 v2, v8
	ds_load_b64 v[4:5], v6 offset:13736
	v_mov_b32_e32 v11, 0
	v_mov_b32_e32 v3, v9
	s_wait_dscnt 0x0
	v_xor_b32_e32 v5, 0x80000000, v5
	ds_store_b64 v160, v[13:14]
	ds_store_b64 v6, v[4:5] offset:13736
.LBB0_25:
	s_wait_alu 0xfffe
	s_or_b32 exec_lo, exec_lo, s1
	s_wait_dscnt 0x0
	v_lshlrev_b64_e32 v[4:5], 4, v[10:11]
	s_add_nc_u64 s[2:3], s[4:5], 0x6a70
	s_wait_alu 0xfffe
	s_delay_alu instid0(VALU_DEP_1) | instskip(SKIP_1) | instid1(VALU_DEP_2)
	v_add_co_u32 v6, s1, s2, v4
	s_wait_alu 0xf1ff
	v_add_co_ci_u32_e64 v7, s1, s3, v5, s1
	s_clause 0x1
	global_load_b128 v[13:16], v[6:7], off offset:2496
	global_load_b128 v[17:20], v[6:7], off offset:4992
	ds_store_b64 v160, v[8:9] offset:8
	ds_store_b128 v12, v[0:3] offset:27456
	ds_load_b128 v[0:3], v160 offset:2496
	ds_load_b128 v[8:11], v12 offset:24960
	s_wait_dscnt 0x0
	v_add_f64_e64 v[21:22], v[0:1], -v[8:9]
	v_add_f64_e32 v[23:24], v[2:3], v[10:11]
	v_add_f64_e64 v[2:3], v[2:3], -v[10:11]
	v_add_f64_e32 v[0:1], v[0:1], v[8:9]
	s_delay_alu instid0(VALU_DEP_4) | instskip(NEXT) | instid1(VALU_DEP_4)
	v_mul_f64_e32 v[10:11], 0.5, v[21:22]
	v_mul_f64_e32 v[21:22], 0.5, v[23:24]
	s_delay_alu instid0(VALU_DEP_4) | instskip(SKIP_1) | instid1(VALU_DEP_3)
	v_mul_f64_e32 v[2:3], 0.5, v[2:3]
	s_wait_loadcnt 0x1
	v_mul_f64_e32 v[8:9], v[10:11], v[15:16]
	s_delay_alu instid0(VALU_DEP_2) | instskip(SKIP_1) | instid1(VALU_DEP_3)
	v_fma_f64 v[23:24], v[21:22], v[15:16], v[2:3]
	v_fma_f64 v[15:16], v[21:22], v[15:16], -v[2:3]
	v_fma_f64 v[25:26], v[0:1], 0.5, v[8:9]
	v_fma_f64 v[8:9], v[0:1], 0.5, -v[8:9]
	s_delay_alu instid0(VALU_DEP_4) | instskip(NEXT) | instid1(VALU_DEP_4)
	v_fma_f64 v[2:3], -v[13:14], v[10:11], v[23:24]
	v_fma_f64 v[10:11], -v[13:14], v[10:11], v[15:16]
	s_delay_alu instid0(VALU_DEP_4) | instskip(NEXT) | instid1(VALU_DEP_4)
	v_fma_f64 v[0:1], v[21:22], v[13:14], v[25:26]
	v_fma_f64 v[8:9], -v[21:22], v[13:14], v[8:9]
	global_load_b128 v[13:16], v[6:7], off offset:7488
	ds_store_b128 v160, v[0:3] offset:2496
	ds_store_b128 v12, v[8:11] offset:24960
	ds_load_b128 v[0:3], v160 offset:4992
	ds_load_b128 v[8:11], v12 offset:22464
	s_wait_dscnt 0x0
	v_add_f64_e64 v[21:22], v[0:1], -v[8:9]
	v_add_f64_e32 v[23:24], v[2:3], v[10:11]
	v_add_f64_e64 v[2:3], v[2:3], -v[10:11]
	v_add_f64_e32 v[0:1], v[0:1], v[8:9]
	s_delay_alu instid0(VALU_DEP_4) | instskip(NEXT) | instid1(VALU_DEP_4)
	v_mul_f64_e32 v[10:11], 0.5, v[21:22]
	v_mul_f64_e32 v[21:22], 0.5, v[23:24]
	s_delay_alu instid0(VALU_DEP_4) | instskip(SKIP_1) | instid1(VALU_DEP_3)
	v_mul_f64_e32 v[2:3], 0.5, v[2:3]
	s_wait_loadcnt 0x1
	v_mul_f64_e32 v[8:9], v[10:11], v[19:20]
	s_delay_alu instid0(VALU_DEP_2) | instskip(SKIP_1) | instid1(VALU_DEP_3)
	v_fma_f64 v[23:24], v[21:22], v[19:20], v[2:3]
	v_fma_f64 v[19:20], v[21:22], v[19:20], -v[2:3]
	v_fma_f64 v[25:26], v[0:1], 0.5, v[8:9]
	v_fma_f64 v[8:9], v[0:1], 0.5, -v[8:9]
	s_delay_alu instid0(VALU_DEP_4) | instskip(NEXT) | instid1(VALU_DEP_4)
	v_fma_f64 v[2:3], -v[17:18], v[10:11], v[23:24]
	v_fma_f64 v[10:11], -v[17:18], v[10:11], v[19:20]
	s_delay_alu instid0(VALU_DEP_4) | instskip(NEXT) | instid1(VALU_DEP_4)
	v_fma_f64 v[0:1], v[21:22], v[17:18], v[25:26]
	v_fma_f64 v[8:9], -v[21:22], v[17:18], v[8:9]
	global_load_b128 v[17:20], v[6:7], off offset:9984
	ds_store_b128 v160, v[0:3] offset:4992
	ds_store_b128 v12, v[8:11] offset:22464
	ds_load_b128 v[0:3], v160 offset:7488
	ds_load_b128 v[8:11], v12 offset:19968
	s_wait_dscnt 0x0
	v_add_f64_e64 v[21:22], v[0:1], -v[8:9]
	v_add_f64_e32 v[23:24], v[2:3], v[10:11]
	v_add_f64_e64 v[2:3], v[2:3], -v[10:11]
	v_add_f64_e32 v[0:1], v[0:1], v[8:9]
	s_delay_alu instid0(VALU_DEP_4) | instskip(NEXT) | instid1(VALU_DEP_4)
	v_mul_f64_e32 v[10:11], 0.5, v[21:22]
	v_mul_f64_e32 v[21:22], 0.5, v[23:24]
	s_delay_alu instid0(VALU_DEP_4) | instskip(SKIP_1) | instid1(VALU_DEP_3)
	v_mul_f64_e32 v[2:3], 0.5, v[2:3]
	s_wait_loadcnt 0x1
	v_mul_f64_e32 v[8:9], v[10:11], v[15:16]
	s_delay_alu instid0(VALU_DEP_2) | instskip(SKIP_1) | instid1(VALU_DEP_3)
	v_fma_f64 v[23:24], v[21:22], v[15:16], v[2:3]
	v_fma_f64 v[15:16], v[21:22], v[15:16], -v[2:3]
	v_fma_f64 v[25:26], v[0:1], 0.5, v[8:9]
	v_fma_f64 v[8:9], v[0:1], 0.5, -v[8:9]
	s_delay_alu instid0(VALU_DEP_4) | instskip(NEXT) | instid1(VALU_DEP_4)
	v_fma_f64 v[2:3], -v[13:14], v[10:11], v[23:24]
	v_fma_f64 v[10:11], -v[13:14], v[10:11], v[15:16]
	s_delay_alu instid0(VALU_DEP_4) | instskip(NEXT) | instid1(VALU_DEP_4)
	v_fma_f64 v[0:1], v[21:22], v[13:14], v[25:26]
	v_fma_f64 v[8:9], -v[21:22], v[13:14], v[8:9]
	ds_store_b128 v160, v[0:3] offset:7488
	ds_store_b128 v12, v[8:11] offset:19968
	ds_load_b128 v[0:3], v160 offset:9984
	ds_load_b128 v[8:11], v12 offset:17472
	s_wait_dscnt 0x0
	v_add_f64_e64 v[13:14], v[0:1], -v[8:9]
	v_add_f64_e32 v[15:16], v[2:3], v[10:11]
	v_add_f64_e64 v[2:3], v[2:3], -v[10:11]
	v_add_f64_e32 v[0:1], v[0:1], v[8:9]
	s_delay_alu instid0(VALU_DEP_4) | instskip(NEXT) | instid1(VALU_DEP_4)
	v_mul_f64_e32 v[10:11], 0.5, v[13:14]
	v_mul_f64_e32 v[13:14], 0.5, v[15:16]
	s_delay_alu instid0(VALU_DEP_4) | instskip(SKIP_1) | instid1(VALU_DEP_3)
	v_mul_f64_e32 v[2:3], 0.5, v[2:3]
	s_wait_loadcnt 0x0
	v_mul_f64_e32 v[8:9], v[10:11], v[19:20]
	s_delay_alu instid0(VALU_DEP_2) | instskip(SKIP_1) | instid1(VALU_DEP_3)
	v_fma_f64 v[15:16], v[13:14], v[19:20], v[2:3]
	v_fma_f64 v[19:20], v[13:14], v[19:20], -v[2:3]
	v_fma_f64 v[21:22], v[0:1], 0.5, v[8:9]
	v_fma_f64 v[8:9], v[0:1], 0.5, -v[8:9]
	s_delay_alu instid0(VALU_DEP_4) | instskip(NEXT) | instid1(VALU_DEP_4)
	v_fma_f64 v[2:3], -v[17:18], v[10:11], v[15:16]
	v_fma_f64 v[10:11], -v[17:18], v[10:11], v[19:20]
	s_delay_alu instid0(VALU_DEP_4) | instskip(NEXT) | instid1(VALU_DEP_4)
	v_fma_f64 v[0:1], v[13:14], v[17:18], v[21:22]
	v_fma_f64 v[8:9], -v[13:14], v[17:18], v[8:9]
	ds_store_b128 v160, v[0:3] offset:9984
	ds_store_b128 v12, v[8:11] offset:17472
	s_and_saveexec_b32 s1, s0
	s_cbranch_execz .LBB0_27
; %bb.26:
	global_load_b128 v[0:3], v[6:7], off offset:12480
	ds_load_b128 v[6:9], v160 offset:12480
	ds_load_b128 v[13:16], v12 offset:14976
	s_wait_dscnt 0x0
	v_add_f64_e64 v[10:11], v[6:7], -v[13:14]
	v_add_f64_e32 v[17:18], v[8:9], v[15:16]
	v_add_f64_e64 v[8:9], v[8:9], -v[15:16]
	v_add_f64_e32 v[6:7], v[6:7], v[13:14]
	s_delay_alu instid0(VALU_DEP_4) | instskip(NEXT) | instid1(VALU_DEP_4)
	v_mul_f64_e32 v[10:11], 0.5, v[10:11]
	v_mul_f64_e32 v[15:16], 0.5, v[17:18]
	s_delay_alu instid0(VALU_DEP_4) | instskip(SKIP_1) | instid1(VALU_DEP_3)
	v_mul_f64_e32 v[8:9], 0.5, v[8:9]
	s_wait_loadcnt 0x0
	v_mul_f64_e32 v[13:14], v[10:11], v[2:3]
	s_delay_alu instid0(VALU_DEP_2) | instskip(SKIP_1) | instid1(VALU_DEP_3)
	v_fma_f64 v[17:18], v[15:16], v[2:3], v[8:9]
	v_fma_f64 v[2:3], v[15:16], v[2:3], -v[8:9]
	v_fma_f64 v[19:20], v[6:7], 0.5, v[13:14]
	v_fma_f64 v[13:14], v[6:7], 0.5, -v[13:14]
	s_delay_alu instid0(VALU_DEP_4) | instskip(NEXT) | instid1(VALU_DEP_4)
	v_fma_f64 v[8:9], -v[0:1], v[10:11], v[17:18]
	v_fma_f64 v[2:3], -v[0:1], v[10:11], v[2:3]
	s_delay_alu instid0(VALU_DEP_4) | instskip(NEXT) | instid1(VALU_DEP_4)
	v_fma_f64 v[6:7], v[15:16], v[0:1], v[19:20]
	v_fma_f64 v[0:1], -v[15:16], v[0:1], v[13:14]
	ds_store_b128 v160, v[6:9] offset:12480
	ds_store_b128 v12, v[0:3] offset:14976
.LBB0_27:
	s_wait_alu 0xfffe
	s_or_b32 exec_lo, exec_lo, s1
	global_wb scope:SCOPE_SE
	s_wait_dscnt 0x0
	s_barrier_signal -1
	s_barrier_wait -1
	global_inv scope:SCOPE_SE
	s_and_saveexec_b32 s0, vcc_lo
	s_cbranch_execz .LBB0_30
; %bb.28:
	ds_load_b128 v[6:9], v160
	ds_load_b128 v[10:13], v160 offset:2496
	ds_load_b128 v[14:17], v160 offset:4992
	;; [unrolled: 1-line block ×10, first 2 shown]
	v_add_co_u32 v0, vcc_lo, s8, v62
	s_wait_alu 0xfffd
	v_add_co_ci_u32_e32 v1, vcc_lo, s9, v63, vcc_lo
	s_delay_alu instid0(VALU_DEP_2) | instskip(SKIP_1) | instid1(VALU_DEP_2)
	v_add_co_u32 v2, vcc_lo, v0, v4
	s_wait_alu 0xfffd
	v_add_co_ci_u32_e32 v3, vcc_lo, v1, v5, vcc_lo
	v_cmp_eq_u32_e32 vcc_lo, 0x9b, v60
	s_wait_dscnt 0xa
	global_store_b128 v[2:3], v[6:9], off
	s_wait_dscnt 0x9
	global_store_b128 v[2:3], v[10:13], off offset:2496
	s_wait_dscnt 0x8
	global_store_b128 v[2:3], v[14:17], off offset:4992
	;; [unrolled: 2-line block ×10, first 2 shown]
	s_and_b32 exec_lo, exec_lo, vcc_lo
	s_cbranch_execz .LBB0_30
; %bb.29:
	v_mov_b32_e32 v2, 0
	ds_load_b128 v[2:5], v2 offset:27456
	s_wait_dscnt 0x0
	global_store_b128 v[0:1], v[2:5], off offset:27456
.LBB0_30:
	s_nop 0
	s_sendmsg sendmsg(MSG_DEALLOC_VGPRS)
	s_endpgm
	.section	.rodata,"a",@progbits
	.p2align	6, 0x0
	.amdhsa_kernel fft_rtc_fwd_len1716_factors_13_2_6_11_wgs_156_tpt_156_dp_ip_CI_unitstride_sbrr_R2C_dirReg
		.amdhsa_group_segment_fixed_size 0
		.amdhsa_private_segment_fixed_size 0
		.amdhsa_kernarg_size 88
		.amdhsa_user_sgpr_count 2
		.amdhsa_user_sgpr_dispatch_ptr 0
		.amdhsa_user_sgpr_queue_ptr 0
		.amdhsa_user_sgpr_kernarg_segment_ptr 1
		.amdhsa_user_sgpr_dispatch_id 0
		.amdhsa_user_sgpr_private_segment_size 0
		.amdhsa_wavefront_size32 1
		.amdhsa_uses_dynamic_stack 0
		.amdhsa_enable_private_segment 0
		.amdhsa_system_sgpr_workgroup_id_x 1
		.amdhsa_system_sgpr_workgroup_id_y 0
		.amdhsa_system_sgpr_workgroup_id_z 0
		.amdhsa_system_sgpr_workgroup_info 0
		.amdhsa_system_vgpr_workitem_id 0
		.amdhsa_next_free_vgpr 219
		.amdhsa_next_free_sgpr 42
		.amdhsa_reserve_vcc 1
		.amdhsa_float_round_mode_32 0
		.amdhsa_float_round_mode_16_64 0
		.amdhsa_float_denorm_mode_32 3
		.amdhsa_float_denorm_mode_16_64 3
		.amdhsa_fp16_overflow 0
		.amdhsa_workgroup_processor_mode 1
		.amdhsa_memory_ordered 1
		.amdhsa_forward_progress 0
		.amdhsa_round_robin_scheduling 0
		.amdhsa_exception_fp_ieee_invalid_op 0
		.amdhsa_exception_fp_denorm_src 0
		.amdhsa_exception_fp_ieee_div_zero 0
		.amdhsa_exception_fp_ieee_overflow 0
		.amdhsa_exception_fp_ieee_underflow 0
		.amdhsa_exception_fp_ieee_inexact 0
		.amdhsa_exception_int_div_zero 0
	.end_amdhsa_kernel
	.text
.Lfunc_end0:
	.size	fft_rtc_fwd_len1716_factors_13_2_6_11_wgs_156_tpt_156_dp_ip_CI_unitstride_sbrr_R2C_dirReg, .Lfunc_end0-fft_rtc_fwd_len1716_factors_13_2_6_11_wgs_156_tpt_156_dp_ip_CI_unitstride_sbrr_R2C_dirReg
                                        ; -- End function
	.section	.AMDGPU.csdata,"",@progbits
; Kernel info:
; codeLenInByte = 11444
; NumSgprs: 44
; NumVgprs: 219
; ScratchSize: 0
; MemoryBound: 0
; FloatMode: 240
; IeeeMode: 1
; LDSByteSize: 0 bytes/workgroup (compile time only)
; SGPRBlocks: 5
; VGPRBlocks: 27
; NumSGPRsForWavesPerEU: 44
; NumVGPRsForWavesPerEU: 219
; Occupancy: 6
; WaveLimiterHint : 1
; COMPUTE_PGM_RSRC2:SCRATCH_EN: 0
; COMPUTE_PGM_RSRC2:USER_SGPR: 2
; COMPUTE_PGM_RSRC2:TRAP_HANDLER: 0
; COMPUTE_PGM_RSRC2:TGID_X_EN: 1
; COMPUTE_PGM_RSRC2:TGID_Y_EN: 0
; COMPUTE_PGM_RSRC2:TGID_Z_EN: 0
; COMPUTE_PGM_RSRC2:TIDIG_COMP_CNT: 0
	.text
	.p2alignl 7, 3214868480
	.fill 96, 4, 3214868480
	.type	__hip_cuid_cc6bdd0e5f8fce1b,@object ; @__hip_cuid_cc6bdd0e5f8fce1b
	.section	.bss,"aw",@nobits
	.globl	__hip_cuid_cc6bdd0e5f8fce1b
__hip_cuid_cc6bdd0e5f8fce1b:
	.byte	0                               ; 0x0
	.size	__hip_cuid_cc6bdd0e5f8fce1b, 1

	.ident	"AMD clang version 19.0.0git (https://github.com/RadeonOpenCompute/llvm-project roc-6.4.0 25133 c7fe45cf4b819c5991fe208aaa96edf142730f1d)"
	.section	".note.GNU-stack","",@progbits
	.addrsig
	.addrsig_sym __hip_cuid_cc6bdd0e5f8fce1b
	.amdgpu_metadata
---
amdhsa.kernels:
  - .args:
      - .actual_access:  read_only
        .address_space:  global
        .offset:         0
        .size:           8
        .value_kind:     global_buffer
      - .offset:         8
        .size:           8
        .value_kind:     by_value
      - .actual_access:  read_only
        .address_space:  global
        .offset:         16
        .size:           8
        .value_kind:     global_buffer
      - .actual_access:  read_only
        .address_space:  global
        .offset:         24
        .size:           8
        .value_kind:     global_buffer
      - .offset:         32
        .size:           8
        .value_kind:     by_value
      - .actual_access:  read_only
        .address_space:  global
        .offset:         40
        .size:           8
        .value_kind:     global_buffer
      - .actual_access:  read_only
        .address_space:  global
        .offset:         48
        .size:           8
        .value_kind:     global_buffer
      - .offset:         56
        .size:           4
        .value_kind:     by_value
      - .actual_access:  read_only
        .address_space:  global
        .offset:         64
        .size:           8
        .value_kind:     global_buffer
      - .actual_access:  read_only
        .address_space:  global
        .offset:         72
        .size:           8
        .value_kind:     global_buffer
      - .address_space:  global
        .offset:         80
        .size:           8
        .value_kind:     global_buffer
    .group_segment_fixed_size: 0
    .kernarg_segment_align: 8
    .kernarg_segment_size: 88
    .language:       OpenCL C
    .language_version:
      - 2
      - 0
    .max_flat_workgroup_size: 156
    .name:           fft_rtc_fwd_len1716_factors_13_2_6_11_wgs_156_tpt_156_dp_ip_CI_unitstride_sbrr_R2C_dirReg
    .private_segment_fixed_size: 0
    .sgpr_count:     44
    .sgpr_spill_count: 0
    .symbol:         fft_rtc_fwd_len1716_factors_13_2_6_11_wgs_156_tpt_156_dp_ip_CI_unitstride_sbrr_R2C_dirReg.kd
    .uniform_work_group_size: 1
    .uses_dynamic_stack: false
    .vgpr_count:     219
    .vgpr_spill_count: 0
    .wavefront_size: 32
    .workgroup_processor_mode: 1
amdhsa.target:   amdgcn-amd-amdhsa--gfx1201
amdhsa.version:
  - 1
  - 2
...

	.end_amdgpu_metadata
